;; amdgpu-corpus repo=ROCm/rocFFT kind=compiled arch=gfx1030 opt=O3
	.text
	.amdgcn_target "amdgcn-amd-amdhsa--gfx1030"
	.amdhsa_code_object_version 6
	.protected	bluestein_single_fwd_len1560_dim1_sp_op_CI_CI ; -- Begin function bluestein_single_fwd_len1560_dim1_sp_op_CI_CI
	.globl	bluestein_single_fwd_len1560_dim1_sp_op_CI_CI
	.p2align	8
	.type	bluestein_single_fwd_len1560_dim1_sp_op_CI_CI,@function
bluestein_single_fwd_len1560_dim1_sp_op_CI_CI: ; @bluestein_single_fwd_len1560_dim1_sp_op_CI_CI
; %bb.0:
	s_load_dwordx4 s[0:3], s[4:5], 0x28
	v_mul_u32_u24_e32 v1, 0x1a5, v0
	v_mov_b32_e32 v57, 0
	v_lshrrev_b32_e32 v1, 16, v1
	v_add_nc_u32_e32 v56, s6, v1
	s_waitcnt lgkmcnt(0)
	v_cmp_gt_u64_e32 vcc_lo, s[0:1], v[56:57]
	s_and_saveexec_b32 s0, vcc_lo
	s_cbranch_execz .LBB0_23
; %bb.1:
	s_clause 0x1
	s_load_dwordx2 s[14:15], s[4:5], 0x0
	s_load_dwordx2 s[12:13], s[4:5], 0x38
	v_mul_lo_u16 v1, 0x9c, v1
	v_sub_nc_u16 v0, v0, v1
	v_and_b32_e32 v86, 0xffff, v0
	v_cmp_gt_u16_e32 vcc_lo, 0x78, v0
	v_lshlrev_b32_e32 v85, 3, v86
	s_and_saveexec_b32 s1, vcc_lo
	s_cbranch_execz .LBB0_3
; %bb.2:
	s_load_dwordx2 s[6:7], s[4:5], 0x18
	s_waitcnt lgkmcnt(0)
	v_add_co_u32 v21, s0, s14, v85
	v_add_co_ci_u32_e64 v22, null, s15, 0, s0
	v_add_nc_u32_e32 v54, 0x400, v85
	v_add_co_u32 v8, s0, 0x800, v21
	v_add_co_ci_u32_e64 v9, s0, 0, v22, s0
	v_add_co_u32 v10, s0, 0x1000, v21
	v_add_co_ci_u32_e64 v11, s0, 0, v22, s0
	;; [unrolled: 2-line block ×3, first 2 shown]
	v_add_nc_u32_e32 v55, 0xc00, v85
	v_add_nc_u32_e32 v57, 0x1400, v85
	s_load_dwordx4 s[8:11], s[6:7], 0x0
	s_clause 0x2
	global_load_dwordx2 v[0:1], v85, s[14:15]
	global_load_dwordx2 v[2:3], v85, s[14:15] offset:960
	global_load_dwordx2 v[4:5], v85, s[14:15] offset:1920
	v_add_nc_u32_e32 v58, 0x1c00, v85
	v_add_nc_u32_e32 v59, 0x2400, v85
	s_waitcnt lgkmcnt(0)
	v_mad_u64_u32 v[6:7], null, s10, v56, 0
	v_mad_u64_u32 v[12:13], null, s8, v86, 0
	s_mul_i32 s6, s9, 0x3c0
	s_mul_hi_u32 s7, s8, 0x3c0
	s_add_i32 s7, s7, s6
	v_mad_u64_u32 v[16:17], null, s11, v56, v[7:8]
	v_mov_b32_e32 v7, v13
	v_add_co_u32 v17, s0, 0x2000, v21
	v_add_co_ci_u32_e64 v18, s0, 0, v22, s0
	v_mad_u64_u32 v[19:20], null, s9, v86, v[7:8]
	v_mov_b32_e32 v7, v16
	v_add_co_u32 v20, s0, 0x2800, v21
	v_add_co_ci_u32_e64 v21, s0, 0, v22, s0
	v_lshlrev_b64 v[6:7], 3, v[6:7]
	v_mov_b32_e32 v13, v19
	s_clause 0x7
	global_load_dwordx2 v[22:23], v[8:9], off offset:832
	global_load_dwordx2 v[8:9], v[8:9], off offset:1792
	;; [unrolled: 1-line block ×8, first 2 shown]
	v_lshlrev_b64 v[12:13], 3, v[12:13]
	v_add_co_u32 v6, s0, s2, v6
	v_add_co_ci_u32_e64 v7, s0, s3, v7, s0
	s_mul_i32 s2, s8, 0x3c0
	v_add_co_u32 v6, s0, v6, v12
	v_add_co_ci_u32_e64 v7, s0, v7, v13, s0
	v_add_co_u32 v12, s0, v6, s2
	v_add_co_ci_u32_e64 v13, s0, s7, v7, s0
	global_load_dwordx2 v[6:7], v[6:7], off
	v_add_co_u32 v28, s0, v12, s2
	v_add_co_ci_u32_e64 v29, s0, s7, v13, s0
	v_add_co_u32 v18, s0, v28, s2
	v_add_co_ci_u32_e64 v19, s0, s7, v29, s0
	;; [unrolled: 2-line block ×3, first 2 shown]
	s_clause 0x2
	global_load_dwordx2 v[12:13], v[12:13], off
	global_load_dwordx2 v[28:29], v[28:29], off
	global_load_dwordx2 v[18:19], v[18:19], off
	v_add_co_u32 v34, s0, v32, s2
	v_add_co_ci_u32_e64 v35, s0, s7, v33, s0
	global_load_dwordx2 v[32:33], v[32:33], off
	v_add_co_u32 v36, s0, v34, s2
	v_add_co_ci_u32_e64 v37, s0, s7, v35, s0
	global_load_dwordx2 v[34:35], v[34:35], off
	v_add_co_u32 v38, s0, v36, s2
	v_add_co_ci_u32_e64 v39, s0, s7, v37, s0
	global_load_dwordx2 v[36:37], v[36:37], off
	v_add_co_u32 v40, s0, v38, s2
	v_add_co_ci_u32_e64 v41, s0, s7, v39, s0
	global_load_dwordx2 v[38:39], v[38:39], off
	v_add_co_u32 v42, s0, v40, s2
	v_add_co_ci_u32_e64 v43, s0, s7, v41, s0
	global_load_dwordx2 v[40:41], v[40:41], off
	v_add_co_u32 v44, s0, v42, s2
	v_add_co_ci_u32_e64 v45, s0, s7, v43, s0
	global_load_dwordx2 v[42:43], v[42:43], off
	v_add_co_u32 v46, s0, v44, s2
	v_add_co_ci_u32_e64 v47, s0, s7, v45, s0
	global_load_dwordx2 v[44:45], v[44:45], off
	v_add_co_u32 v48, s0, v46, s2
	v_add_co_ci_u32_e64 v49, s0, s7, v47, s0
	global_load_dwordx2 v[46:47], v[46:47], off
	s_clause 0x1
	global_load_dwordx2 v[50:51], v[20:21], off offset:320
	global_load_dwordx2 v[20:21], v[20:21], off offset:1280
	global_load_dwordx2 v[48:49], v[48:49], off
	s_waitcnt vmcnt(14)
	v_mul_f32_e32 v52, v7, v1
	v_mul_f32_e32 v53, v6, v1
	v_fmac_f32_e32 v52, v6, v0
	v_fma_f32 v53, v7, v0, -v53
	s_waitcnt vmcnt(13)
	v_mul_f32_e32 v1, v13, v3
	v_mul_f32_e32 v0, v12, v3
	s_waitcnt vmcnt(12)
	v_mul_f32_e32 v6, v28, v5
	v_mul_f32_e32 v5, v29, v5
	;; [unrolled: 3-line block ×3, first 2 shown]
	v_fmac_f32_e32 v1, v12, v2
	v_fma_f32 v2, v13, v2, -v0
	v_fma_f32 v6, v29, v4, -v6
	v_fmac_f32_e32 v5, v28, v4
	v_fmac_f32_e32 v3, v18, v22
	v_fma_f32 v4, v19, v22, -v7
	s_waitcnt vmcnt(10)
	v_mul_f32_e32 v0, v33, v9
	v_mul_f32_e32 v7, v32, v9
	ds_write2_b64 v85, v[52:53], v[1:2] offset1:120
	s_waitcnt vmcnt(9)
	v_mul_f32_e32 v2, v35, v25
	ds_write2_b64 v54, v[5:6], v[3:4] offset0:112 offset1:232
	s_waitcnt vmcnt(8)
	v_mul_f32_e32 v4, v37, v11
	v_mul_f32_e32 v5, v36, v11
	v_fmac_f32_e32 v0, v32, v8
	v_fma_f32 v1, v33, v8, -v7
	v_mul_f32_e32 v3, v34, v25
	s_waitcnt vmcnt(7)
	v_mul_f32_e32 v6, v39, v27
	v_mul_f32_e32 v7, v38, v27
	v_fmac_f32_e32 v4, v36, v10
	v_fma_f32 v5, v37, v10, -v5
	v_fmac_f32_e32 v2, v34, v24
	s_waitcnt vmcnt(6)
	v_mul_f32_e32 v8, v41, v15
	v_mul_f32_e32 v9, v40, v15
	v_fma_f32 v3, v35, v24, -v3
	v_fmac_f32_e32 v6, v38, v26
	v_fma_f32 v7, v39, v26, -v7
	s_waitcnt vmcnt(5)
	v_mul_f32_e32 v10, v43, v31
	v_mul_f32_e32 v11, v42, v31
	v_fmac_f32_e32 v8, v40, v14
	v_fma_f32 v9, v41, v14, -v9
	s_waitcnt vmcnt(4)
	v_mul_f32_e32 v12, v45, v17
	v_mul_f32_e32 v13, v44, v17
	v_fmac_f32_e32 v10, v42, v30
	s_waitcnt vmcnt(2)
	v_mul_f32_e32 v14, v47, v51
	v_mul_f32_e32 v15, v46, v51
	s_waitcnt vmcnt(0)
	v_mul_f32_e32 v17, v49, v21
	v_mul_f32_e32 v18, v48, v21
	v_fma_f32 v11, v43, v30, -v11
	v_fmac_f32_e32 v12, v44, v16
	v_fma_f32 v13, v45, v16, -v13
	v_fmac_f32_e32 v14, v46, v50
	;; [unrolled: 2-line block ×3, first 2 shown]
	v_fma_f32 v18, v49, v20, -v18
	ds_write2_b64 v55, v[0:1], v[2:3] offset0:96 offset1:216
	ds_write2_b64 v57, v[4:5], v[6:7] offset0:80 offset1:200
	;; [unrolled: 1-line block ×4, first 2 shown]
	ds_write_b64 v85, v[17:18] offset:11520
.LBB0_3:
	s_or_b32 exec_lo, exec_lo, s1
	s_clause 0x1
	s_load_dwordx2 s[0:1], s[4:5], 0x20
	s_load_dwordx2 s[2:3], s[4:5], 0x8
	v_mov_b32_e32 v0, 0
	v_mov_b32_e32 v1, 0
	s_waitcnt lgkmcnt(0)
	s_barrier
	buffer_gl0_inv
                                        ; implicit-def: $vgpr14
                                        ; implicit-def: $vgpr10
                                        ; implicit-def: $vgpr4
                                        ; implicit-def: $vgpr24
                                        ; implicit-def: $vgpr18
                                        ; implicit-def: $vgpr22
                                        ; kill: def $vgpr2 killed $sgpr0 killed $exec
	s_and_saveexec_b32 s4, vcc_lo
	s_cbranch_execz .LBB0_5
; %bb.4:
	v_add_nc_u32_e32 v4, 0x400, v85
	v_add_nc_u32_e32 v5, 0xc00, v85
	;; [unrolled: 1-line block ×5, first 2 shown]
	ds_read2_b64 v[0:3], v85 offset1:120
	ds_read2_b64 v[20:23], v4 offset0:112 offset1:232
	ds_read2_b64 v[16:19], v5 offset0:96 offset1:216
	;; [unrolled: 1-line block ×5, first 2 shown]
	ds_read_b64 v[24:25], v85 offset:11520
.LBB0_5:
	s_or_b32 exec_lo, exec_lo, s4
	s_waitcnt lgkmcnt(0)
	v_sub_f32_e32 v52, v3, v25
	v_sub_f32_e32 v65, v2, v24
	v_add_f32_e32 v26, v24, v2
	v_add_f32_e32 v28, v25, v3
	v_sub_f32_e32 v59, v21, v7
	v_mul_f32_e32 v37, 0xbeedf032, v52
	v_mul_f32_e32 v44, 0xbeedf032, v65
	v_add_f32_e32 v27, v6, v20
	v_sub_f32_e32 v67, v20, v6
	v_mul_f32_e32 v39, 0xbf52af12, v59
	v_fmamk_f32 v30, v26, 0x3f62ad3f, v37
	v_fma_f32 v31, 0x3f62ad3f, v28, -v44
	v_add_f32_e32 v29, v7, v21
	v_mul_f32_e32 v46, 0xbf52af12, v67
	v_sub_f32_e32 v66, v23, v5
	v_add_f32_e32 v32, v30, v0
	v_add_f32_e32 v33, v31, v1
	v_fmamk_f32 v31, v27, 0x3f116cb1, v39
	v_sub_f32_e32 v68, v22, v4
	v_fma_f32 v34, 0x3f116cb1, v29, -v46
	v_add_f32_e32 v30, v4, v22
	v_mul_f32_e32 v41, 0xbf7e222b, v66
	v_add_f32_e32 v32, v31, v32
	v_add_f32_e32 v31, v5, v23
	v_mul_f32_e32 v45, 0xbf7e222b, v68
	v_sub_f32_e32 v72, v17, v11
	v_add_f32_e32 v33, v34, v33
	v_fmamk_f32 v36, v30, 0x3df6dbef, v41
	v_sub_f32_e32 v75, v16, v10
	v_fma_f32 v38, 0x3df6dbef, v31, -v45
	v_add_f32_e32 v34, v10, v16
	v_mul_f32_e32 v43, 0xbf6f5d39, v72
	v_add_f32_e32 v35, v11, v17
	v_mul_f32_e32 v48, 0xbf6f5d39, v75
	v_add_f32_e32 v32, v36, v32
	v_sub_f32_e32 v76, v19, v9
	v_add_f32_e32 v33, v38, v33
	v_fmamk_f32 v38, v34, 0xbeb58ec6, v43
	v_sub_f32_e32 v78, v18, v8
	v_fma_f32 v40, 0xbeb58ec6, v35, -v48
	v_add_f32_e32 v36, v8, v18
	v_mul_f32_e32 v47, 0xbf29c268, v76
	v_add_f32_e32 v32, v38, v32
	v_add_f32_e32 v38, v9, v19
	v_sub_f32_e32 v77, v13, v15
	v_mul_f32_e32 v50, 0xbf29c268, v78
	v_add_f32_e32 v33, v40, v33
	v_fmamk_f32 v42, v36, 0xbf3f9e67, v47
	v_add_f32_e32 v40, v14, v12
	v_mul_f32_e32 v49, 0xbe750f2a, v77
	v_fma_f32 v51, 0xbf3f9e67, v38, -v50
	v_mul_f32_e32 v60, 0xbf52af12, v52
	v_add_f32_e32 v32, v42, v32
	v_mul_f32_e32 v61, 0xbf6f5d39, v59
	v_fmamk_f32 v42, v40, 0xbf788fa5, v49
	v_add_f32_e32 v33, v51, v33
	v_fmamk_f32 v51, v26, 0x3f116cb1, v60
	v_mul_f32_e32 v69, 0xbf52af12, v65
	v_mul_f32_e32 v70, 0xbf6f5d39, v67
	v_add_f32_e32 v57, v42, v32
	v_mul_f32_e32 v63, 0xbe750f2a, v66
	v_add_f32_e32 v32, v51, v0
	v_fmamk_f32 v51, v27, 0xbeb58ec6, v61
	v_fma_f32 v53, 0x3f116cb1, v28, -v69
	v_fma_f32 v54, 0xbeb58ec6, v29, -v70
	v_fmamk_f32 v55, v30, 0xbf788fa5, v63
	v_mul_f32_e32 v71, 0xbe750f2a, v68
	v_add_f32_e32 v32, v51, v32
	v_add_f32_e32 v53, v53, v1
	v_mul_f32_e32 v62, 0x3f29c268, v72
	v_mul_f32_e32 v74, 0x3f29c268, v75
	;; [unrolled: 1-line block ×3, first 2 shown]
	v_add_f32_e32 v32, v55, v32
	v_add_f32_e32 v54, v54, v53
	v_fma_f32 v55, 0xbf788fa5, v31, -v71
	v_fmamk_f32 v58, v34, 0xbf3f9e67, v62
	v_mul_f32_e32 v53, 0x3f7e222b, v76
	v_mul_f32_e32 v81, 0xbf7e222b, v52
	;; [unrolled: 1-line block ×3, first 2 shown]
	v_add_f32_e32 v54, v55, v54
	v_fma_f32 v55, 0xbf3f9e67, v35, -v74
	v_add_f32_e32 v32, v58, v32
	v_fmamk_f32 v58, v36, 0x3df6dbef, v53
	v_mul_f32_e32 v83, 0xbe750f2a, v59
	v_fma_f32 v64, 0x3df6dbef, v28, -v94
	v_add_f32_e32 v54, v55, v54
	v_fma_f32 v55, 0x3df6dbef, v38, -v73
	v_add_f32_e32 v32, v58, v32
	v_fmamk_f32 v58, v26, 0x3df6dbef, v81
	v_mul_f32_e32 v95, 0xbe750f2a, v67
	v_add_f32_e32 v79, v64, v1
	v_add_f32_e32 v54, v55, v54
	v_mul_f32_e32 v87, 0x3f6f5d39, v66
	v_add_f32_e32 v55, v58, v0
	v_fmamk_f32 v58, v27, 0xbf788fa5, v83
	v_fma_f32 v82, 0xbf788fa5, v29, -v95
	v_mul_f32_e32 v91, 0x3f6f5d39, v68
	v_mul_f32_e32 v89, 0x3eedf032, v72
	;; [unrolled: 1-line block ×3, first 2 shown]
	v_add_f32_e32 v55, v58, v55
	v_add_f32_e32 v58, v82, v79
	v_fmamk_f32 v79, v30, 0xbeb58ec6, v87
	v_fma_f32 v82, 0xbeb58ec6, v31, -v91
	v_sub_f32_e32 v80, v12, v14
	v_fmamk_f32 v84, v34, 0x3f62ad3f, v89
	v_fma_f32 v90, 0x3f62ad3f, v35, -v92
	v_add_f32_e32 v55, v79, v55
	v_add_f32_e32 v58, v82, v58
	v_mul_f32_e32 v82, 0xbf52af12, v76
	v_mul_f32_e32 v93, 0xbf52af12, v78
	v_add_f32_e32 v42, v15, v13
	v_mul_f32_e32 v51, 0xbe750f2a, v80
	v_mul_f32_e32 v64, 0x3eedf032, v77
	;; [unrolled: 1-line block ×3, first 2 shown]
	v_add_f32_e32 v55, v84, v55
	v_add_f32_e32 v58, v90, v58
	v_fmamk_f32 v97, v36, 0x3f116cb1, v82
	v_fma_f32 v98, 0x3f116cb1, v38, -v93
	v_mul_f32_e32 v84, 0xbf29c268, v77
	v_mul_f32_e32 v90, 0xbf29c268, v80
	v_fma_f32 v88, 0xbf788fa5, v42, -v51
	v_fmamk_f32 v96, v40, 0x3f62ad3f, v64
	v_fma_f32 v99, 0x3f62ad3f, v42, -v79
	v_add_f32_e32 v55, v97, v55
	v_add_f32_e32 v97, v98, v58
	v_fmamk_f32 v98, v40, 0xbf3f9e67, v84
	v_fma_f32 v100, 0xbf3f9e67, v42, -v90
	v_add_f32_e32 v58, v88, v33
	v_add_f32_e32 v32, v96, v32
	;; [unrolled: 1-line block ×5, first 2 shown]
	v_mul_lo_u16 v88, v86, 13
	s_barrier
	buffer_gl0_inv
	s_and_saveexec_b32 s4, vcc_lo
	s_cbranch_execz .LBB0_7
; %bb.6:
	v_mul_f32_e32 v98, 0xbf3f9e67, v28
	v_mul_f32_e32 v99, 0x3df6dbef, v29
	;; [unrolled: 1-line block ×5, first 2 shown]
	v_fmamk_f32 v96, v65, 0x3f29c268, v98
	v_fmamk_f32 v105, v67, 0xbf7e222b, v99
	;; [unrolled: 1-line block ×3, first 2 shown]
	v_mul_f32_e32 v102, 0xbf788fa5, v35
	v_mul_f32_e32 v104, 0xbf52af12, v66
	v_add_f32_e32 v96, v96, v1
	v_fmamk_f32 v107, v27, 0x3df6dbef, v103
	v_fmamk_f32 v108, v68, 0x3f52af12, v101
	v_add_f32_e32 v97, v97, v0
	v_mul_f32_e32 v106, 0x3e750f2a, v72
	v_add_f32_e32 v96, v105, v96
	v_mul_f32_e32 v105, 0x3f62ad3f, v38
	v_fmamk_f32 v109, v30, 0x3f116cb1, v104
	v_fmamk_f32 v110, v75, 0xbe750f2a, v102
	v_add_f32_e32 v97, v107, v97
	v_add_f32_e32 v96, v108, v96
	v_mul_f32_e32 v107, 0x3eedf032, v76
	v_fmamk_f32 v108, v34, 0xbf788fa5, v106
	v_fmamk_f32 v111, v78, 0xbeedf032, v105
	v_add_f32_e32 v97, v109, v97
	v_add_f32_e32 v96, v110, v96
	v_mul_f32_e32 v109, 0xbeb58ec6, v42
	v_mul_f32_e32 v110, 0xbe750f2a, v65
	v_fmamk_f32 v112, v36, 0x3f62ad3f, v107
	v_add_f32_e32 v97, v108, v97
	v_add_f32_e32 v96, v111, v96
	v_fmamk_f32 v108, v80, 0x3f6f5d39, v109
	v_fmamk_f32 v111, v28, 0xbf788fa5, v110
	v_mul_f32_e32 v113, 0x3eedf032, v67
	v_mul_f32_e32 v115, 0xbe750f2a, v52
	v_add_f32_e32 v112, v112, v97
	v_mul_f32_e32 v117, 0xbf29c268, v68
	v_add_f32_e32 v111, v111, v1
	v_fmamk_f32 v116, v29, 0x3f62ad3f, v113
	v_add_f32_e32 v97, v108, v96
	v_fma_f32 v96, 0xbf788fa5, v26, -v115
	v_mul_f32_e32 v108, 0x3eedf032, v59
	v_mul_f32_e32 v114, 0xbf6f5d39, v77
	v_add_f32_e32 v111, v116, v111
	v_fmamk_f32 v116, v31, 0xbf3f9e67, v117
	v_mul_f32_e32 v118, 0x3f52af12, v75
	v_add_f32_e32 v96, v96, v0
	v_fma_f32 v119, 0x3f62ad3f, v27, -v108
	v_mul_f32_e32 v120, 0xbf29c268, v66
	v_fmac_f32_e32 v98, 0xbf29c268, v65
	v_add_f32_e32 v111, v116, v111
	v_fmamk_f32 v116, v35, 0x3f116cb1, v118
	v_mul_f32_e32 v121, 0xbf6f5d39, v78
	v_add_f32_e32 v96, v119, v96
	v_fma_f32 v119, 0xbf3f9e67, v30, -v120
	v_mul_f32_e32 v122, 0x3f52af12, v72
	v_fmamk_f32 v123, v40, 0xbeb58ec6, v114
	v_fma_f32 v100, 0xbf3f9e67, v26, -v100
	v_add_f32_e32 v98, v98, v1
	v_fmac_f32_e32 v99, 0x3f7e222b, v67
	v_add_f32_e32 v111, v116, v111
	v_fmamk_f32 v116, v38, 0xbeb58ec6, v121
	v_add_f32_e32 v119, v119, v96
	v_fma_f32 v124, 0x3f116cb1, v34, -v122
	v_add_f32_e32 v96, v123, v112
	v_mul_f32_e32 v112, 0xbf6f5d39, v76
	v_add_f32_e32 v100, v100, v0
	v_fma_f32 v103, 0x3df6dbef, v27, -v103
	v_add_f32_e32 v98, v99, v98
	v_fmac_f32_e32 v101, 0xbf52af12, v68
	v_add_f32_e32 v111, v116, v111
	v_add_f32_e32 v116, v124, v119
	v_fma_f32 v119, 0xbeb58ec6, v36, -v112
	v_add_f32_e32 v100, v103, v100
	v_fma_f32 v103, 0x3f116cb1, v30, -v104
	v_mul_f32_e32 v104, 0x3f7e222b, v77
	v_add_f32_e32 v98, v101, v98
	v_fmac_f32_e32 v102, 0x3e750f2a, v75
	v_add_f32_e32 v116, v119, v116
	v_add_f32_e32 v100, v103, v100
	v_fma_f32 v101, 0xbf788fa5, v34, -v106
	v_fma_f32 v103, 0x3df6dbef, v40, -v104
	v_add_f32_e32 v102, v102, v98
	v_fmac_f32_e32 v105, 0x3eedf032, v78
	v_mul_f32_e32 v106, 0xbf6f5d39, v65
	v_mul_f32_e32 v123, 0x3f7e222b, v80
	v_add_f32_e32 v65, v101, v100
	v_fma_f32 v100, 0x3f62ad3f, v36, -v107
	v_add_f32_e32 v98, v103, v116
	v_add_f32_e32 v101, v105, v102
	v_fmamk_f32 v102, v28, 0xbeb58ec6, v106
	v_mul_f32_e32 v103, 0x3f29c268, v67
	v_mul_f32_e32 v52, 0xbf6f5d39, v52
	v_fmamk_f32 v99, v42, 0x3df6dbef, v123
	v_add_f32_e32 v65, v100, v65
	v_add_f32_e32 v67, v102, v1
	v_fmamk_f32 v100, v29, 0xbf3f9e67, v103
	v_mul_f32_e32 v102, 0x3eedf032, v68
	v_fma_f32 v68, 0xbeb58ec6, v26, -v52
	v_mul_f32_e32 v59, 0x3f29c268, v59
	v_add_f32_e32 v99, v99, v111
	v_fmac_f32_e32 v109, 0xbf6f5d39, v80
	v_add_f32_e32 v67, v100, v67
	v_fmamk_f32 v100, v31, 0x3f62ad3f, v102
	v_add_f32_e32 v68, v68, v0
	v_fma_f32 v107, 0xbf3f9e67, v27, -v59
	v_mul_f32_e32 v111, 0x3eedf032, v66
	v_mul_f32_e32 v75, 0xbf7e222b, v75
	v_add_f32_e32 v66, v109, v101
	v_add_f32_e32 v67, v100, v67
	;; [unrolled: 1-line block ×3, first 2 shown]
	v_fma_f32 v100, 0x3f62ad3f, v30, -v111
	v_mul_f32_e32 v72, 0xbf7e222b, v72
	v_fmamk_f32 v101, v35, 0x3df6dbef, v75
	v_fma_f32 v105, 0xbeb58ec6, v40, -v114
	v_mul_f32_e32 v78, 0x3e750f2a, v78
	v_add_f32_e32 v68, v100, v68
	v_fma_f32 v100, 0x3df6dbef, v34, -v72
	v_add_f32_e32 v67, v101, v67
	v_mul_f32_e32 v101, 0x3df6dbef, v28
	v_mul_f32_e32 v76, 0x3e750f2a, v76
	v_add_f32_e32 v65, v105, v65
	v_add_f32_e32 v68, v100, v68
	v_mul_f32_e32 v100, 0xbf788fa5, v29
	v_add_f32_e32 v94, v94, v101
	v_fmamk_f32 v105, v38, 0xbf788fa5, v78
	v_fma_f32 v101, 0xbf788fa5, v36, -v76
	v_mul_f32_e32 v80, 0x3f52af12, v80
	v_add_f32_e32 v95, v95, v100
	v_add_f32_e32 v94, v94, v1
	;; [unrolled: 1-line block ×4, first 2 shown]
	v_mul_f32_e32 v68, 0xbeb58ec6, v31
	v_fmamk_f32 v101, v42, 0x3f116cb1, v80
	v_add_f32_e32 v94, v95, v94
	v_mul_f32_e32 v95, 0x3df6dbef, v26
	v_mul_f32_e32 v105, 0x3f62ad3f, v35
	v_add_f32_e32 v91, v91, v68
	v_add_f32_e32 v68, v101, v67
	v_mul_f32_e32 v67, 0xbf788fa5, v27
	v_sub_f32_e32 v81, v95, v81
	v_add_f32_e32 v92, v92, v105
	v_add_f32_e32 v91, v91, v94
	v_mul_f32_e32 v94, 0x3f116cb1, v38
	v_sub_f32_e32 v67, v67, v83
	v_add_f32_e32 v81, v81, v0
	v_mul_f32_e32 v83, 0xbeb58ec6, v30
	v_add_f32_e32 v91, v92, v91
	v_add_f32_e32 v92, v93, v94
	;; [unrolled: 1-line block ×4, first 2 shown]
	v_sub_f32_e32 v83, v83, v87
	v_mul_f32_e32 v87, 0x3f62ad3f, v34
	v_add_f32_e32 v91, v92, v91
	v_mul_f32_e32 v92, 0xbf3f9e67, v42
	v_add_f32_e32 v21, v21, v3
	v_add_f32_e32 v81, v83, v81
	v_sub_f32_e32 v83, v87, v89
	v_mul_f32_e32 v89, 0x3f116cb1, v36
	v_add_f32_e32 v2, v2, v0
	v_add_f32_e32 v90, v90, v92
	v_mul_f32_e32 v92, 0xbeb58ec6, v29
	v_add_f32_e32 v81, v83, v81
	v_sub_f32_e32 v82, v89, v82
	v_add_f32_e32 v21, v23, v21
	v_add_f32_e32 v2, v20, v2
	v_mul_f32_e32 v87, 0x3f116cb1, v28
	v_add_f32_e32 v70, v70, v92
	v_add_f32_e32 v81, v82, v81
	v_mul_f32_e32 v82, 0xbf788fa5, v31
	v_mul_f32_e32 v92, 0x3f116cb1, v26
	v_add_f32_e32 v17, v17, v21
	v_add_f32_e32 v21, v22, v2
	;; [unrolled: 1-line block ×4, first 2 shown]
	v_mul_f32_e32 v82, 0xbf3f9e67, v35
	v_mul_f32_e32 v83, 0xbf3f9e67, v40
	v_sub_f32_e32 v60, v92, v60
	v_add_f32_e32 v17, v19, v17
	v_add_f32_e32 v16, v16, v21
	;; [unrolled: 1-line block ×3, first 2 shown]
	v_mul_f32_e32 v82, 0xbeb58ec6, v27
	v_add_f32_e32 v69, v69, v1
	v_sub_f32_e32 v83, v83, v84
	v_mul_f32_e32 v84, 0x3f62ad3f, v28
	v_add_f32_e32 v60, v60, v0
	v_sub_f32_e32 v61, v82, v61
	v_mul_f32_e32 v82, 0xbf788fa5, v30
	v_add_f32_e32 v13, v13, v17
	v_add_f32_e32 v16, v18, v16
	;; [unrolled: 1-line block ×4, first 2 shown]
	v_mul_f32_e32 v83, 0x3f116cb1, v29
	v_add_f32_e32 v60, v61, v60
	v_sub_f32_e32 v63, v82, v63
	v_mul_f32_e32 v82, 0xbf3f9e67, v34
	v_add_f32_e32 v44, v44, v84
	v_add_f32_e32 v13, v15, v13
	;; [unrolled: 1-line block ×4, first 2 shown]
	v_mul_f32_e32 v63, 0x3df6dbef, v36
	v_sub_f32_e32 v62, v82, v62
	v_add_f32_e32 v44, v44, v1
	v_add_f32_e32 v46, v46, v83
	;; [unrolled: 1-line block ×4, first 2 shown]
	v_fma_f32 v14, 0xbf788fa5, v28, -v110
	v_add_f32_e32 v60, v62, v60
	v_sub_f32_e32 v53, v63, v53
	v_add_f32_e32 v44, v46, v44
	v_mul_f32_e32 v46, 0x3f62ad3f, v40
	v_add_f32_e32 v9, v11, v9
	v_add_f32_e32 v8, v8, v13
	;; [unrolled: 1-line block ×3, first 2 shown]
	v_fma_f32 v13, 0x3f62ad3f, v29, -v113
	v_mul_f32_e32 v87, 0x3f62ad3f, v26
	v_add_f32_e32 v20, v53, v60
	v_sub_f32_e32 v23, v46, v64
	v_add_f32_e32 v5, v5, v9
	v_add_f32_e32 v8, v10, v8
	;; [unrolled: 1-line block ×3, first 2 shown]
	v_fma_f32 v10, 0xbf3f9e67, v31, -v117
	v_mul_f32_e32 v81, 0x3f116cb1, v27
	v_add_f32_e32 v71, v71, v89
	v_mul_f32_e32 v89, 0x3df6dbef, v38
	v_add_f32_e32 v2, v23, v20
	v_sub_f32_e32 v20, v87, v37
	v_add_f32_e32 v5, v7, v5
	v_add_f32_e32 v4, v4, v8
	;; [unrolled: 1-line block ×3, first 2 shown]
	v_fma_f32 v8, 0x3f116cb1, v35, -v118
	v_fmac_f32_e32 v115, 0xbf788fa5, v26
	v_add_f32_e32 v70, v90, v91
	v_mul_f32_e32 v90, 0x3df6dbef, v30
	v_add_f32_e32 v71, v74, v71
	v_add_f32_e32 v73, v73, v89
	;; [unrolled: 1-line block ×3, first 2 shown]
	v_sub_f32_e32 v17, v81, v39
	v_add_f32_e32 v4, v6, v4
	v_add_f32_e32 v6, v8, v7
	v_fma_f32 v7, 0xbeb58ec6, v38, -v121
	v_add_f32_e32 v8, v115, v0
	v_fmac_f32_e32 v108, 0x3f62ad3f, v27
	v_fma_f32 v9, 0xbeb58ec6, v28, -v106
	v_fmac_f32_e32 v52, 0xbeb58ec6, v26
	v_mul_f32_e32 v74, 0x3df6dbef, v31
	v_mul_f32_e32 v89, 0xbeb58ec6, v34
	v_add_f32_e32 v71, v73, v71
	v_mul_f32_e32 v73, 0x3f62ad3f, v42
	v_add_f32_e32 v16, v17, v20
	v_sub_f32_e32 v17, v90, v41
	v_add_f32_e32 v6, v7, v6
	v_add_f32_e32 v7, v108, v8
	;; [unrolled: 1-line block ×3, first 2 shown]
	v_fma_f32 v8, 0xbf3f9e67, v29, -v103
	v_add_f32_e32 v0, v52, v0
	v_fmac_f32_e32 v59, 0xbf3f9e67, v27
	v_mul_f32_e32 v61, 0xbeb58ec6, v35
	v_add_f32_e32 v45, v45, v74
	v_fmac_f32_e32 v120, 0xbf3f9e67, v30
	v_add_f32_e32 v73, v79, v73
	v_mul_f32_e32 v79, 0xbf3f9e67, v36
	v_add_f32_e32 v15, v17, v16
	v_sub_f32_e32 v16, v89, v43
	v_add_f32_e32 v1, v8, v1
	v_fma_f32 v8, 0x3f62ad3f, v31, -v102
	v_add_f32_e32 v0, v59, v0
	v_fmac_f32_e32 v111, 0x3f62ad3f, v30
	v_mul_f32_e32 v84, 0xbf3f9e67, v38
	v_add_f32_e32 v44, v45, v44
	v_add_f32_e32 v22, v48, v61
	v_add_f32_e32 v7, v120, v7
	v_fmac_f32_e32 v122, 0x3f116cb1, v34
	v_mul_f32_e32 v82, 0xbf788fa5, v40
	v_add_f32_e32 v14, v16, v15
	v_sub_f32_e32 v15, v79, v47
	v_add_f32_e32 v1, v8, v1
	v_fma_f32 v8, 0x3df6dbef, v35, -v75
	v_add_f32_e32 v0, v111, v0
	v_fmac_f32_e32 v72, 0x3df6dbef, v34
	v_mul_f32_e32 v62, 0xbf788fa5, v42
	v_add_f32_e32 v19, v22, v44
	v_add_f32_e32 v21, v50, v84
	v_mul_f32_e32 v77, 0x3f52af12, v77
	v_add_f32_e32 v7, v122, v7
	v_fmac_f32_e32 v112, 0xbeb58ec6, v36
	v_add_f32_e32 v11, v15, v14
	v_sub_f32_e32 v13, v82, v49
	v_add_f32_e32 v1, v8, v1
	v_fma_f32 v8, 0xbf788fa5, v38, -v78
	v_add_f32_e32 v0, v72, v0
	v_fmac_f32_e32 v76, 0xbf788fa5, v36
	v_add_f32_e32 v18, v21, v19
	v_add_f32_e32 v19, v51, v62
	v_mov_b32_e32 v10, 3
	v_fma_f32 v95, 0x3f116cb1, v40, -v77
	v_fma_f32 v9, 0x3df6dbef, v42, -v123
	v_add_f32_e32 v7, v112, v7
	v_fmac_f32_e32 v104, 0x3df6dbef, v40
	v_add_f32_e32 v11, v13, v11
	v_add_f32_e32 v8, v8, v1
	v_fma_f32 v13, 0x3f116cb1, v42, -v80
	v_add_f32_e32 v14, v76, v0
	v_fmac_f32_e32 v77, 0x3f116cb1, v40
	v_add_f32_e32 v12, v19, v18
	v_add_f32_e32 v5, v25, v5
	;; [unrolled: 1-line block ×3, first 2 shown]
	v_lshlrev_b32_sdwa v10, v10, v88 dst_sel:DWORD dst_unused:UNUSED_PAD src0_sel:DWORD src1_sel:WORD_0
	v_add_f32_e32 v3, v73, v71
	v_add_f32_e32 v67, v95, v100
	v_add_f32_e32 v1, v9, v6
	v_add_f32_e32 v0, v104, v7
	v_add_f32_e32 v7, v13, v8
	v_add_f32_e32 v6, v77, v14
	ds_write2_b64 v10, v[4:5], v[11:12] offset1:1
	ds_write2_b64 v10, v[2:3], v[69:70] offset0:2 offset1:3
	ds_write2_b64 v10, v[67:68], v[65:66] offset0:4 offset1:5
	;; [unrolled: 1-line block ×5, first 2 shown]
	ds_write_b64 v10, v[57:58] offset:96
.LBB0_7:
	s_or_b32 exec_lo, exec_lo, s4
	v_and_b32_e32 v0, 0xff, v86
	v_add_co_u32 v31, null, 0x270, v86
	s_load_dwordx4 s[4:7], s[0:1], 0x0
	v_add_co_u32 v18, s0, 0x9c, v86
	v_mul_lo_u16 v34, 0x4f, v0
	v_mov_b32_e32 v0, 0x4ec5
	v_add_co_ci_u32_e64 v19, null, 0, 0, s0
	v_add_co_u32 v16, s0, 0x138, v86
	v_lshrrev_b16 v35, 10, v34
	v_mul_u32_u24_sdwa v4, v31, v0 dst_sel:DWORD dst_unused:UNUSED_PAD src0_sel:WORD_0 src1_sel:DWORD
	v_add_co_ci_u32_e64 v17, null, 0, 0, s0
	v_add_co_u32 v20, s0, 0x1d4, v86
	v_mul_u32_u24_sdwa v5, v18, v0 dst_sel:DWORD dst_unused:UNUSED_PAD src0_sel:WORD_0 src1_sel:DWORD
	v_lshrrev_b32_e32 v36, 18, v4
	v_mul_u32_u24_sdwa v6, v16, v0 dst_sel:DWORD dst_unused:UNUSED_PAD src0_sel:WORD_0 src1_sel:DWORD
	v_mul_lo_u16 v1, v35, 13
	v_mul_u32_u24_sdwa v7, v20, v0 dst_sel:DWORD dst_unused:UNUSED_PAD src0_sel:WORD_0 src1_sel:DWORD
	v_lshrrev_b32_e32 v37, 18, v5
	v_mul_lo_u16 v0, v36, 13
	v_lshrrev_b32_e32 v38, 18, v6
	v_sub_nc_u16 v1, v86, v1
	v_lshrrev_b32_e32 v39, 18, v7
	v_mul_lo_u16 v2, v37, 13
	v_mov_b32_e32 v30, 3
	v_sub_nc_u16 v40, v31, v0
	v_mul_lo_u16 v0, v38, 13
	v_and_b32_e32 v41, 0xff, v1
	v_mul_lo_u16 v1, v39, 13
	v_sub_nc_u16 v42, v18, v2
	v_lshlrev_b32_sdwa v2, v30, v40 dst_sel:DWORD dst_unused:UNUSED_PAD src0_sel:DWORD src1_sel:WORD_0
	v_sub_nc_u16 v43, v16, v0
	v_lshlrev_b32_e32 v0, 3, v41
	v_sub_nc_u16 v44, v20, v1
	v_lshlrev_b32_sdwa v1, v30, v42 dst_sel:DWORD dst_unused:UNUSED_PAD src0_sel:DWORD src1_sel:WORD_0
	s_waitcnt lgkmcnt(0)
	s_barrier
	buffer_gl0_inv
	s_clause 0x1
	global_load_dwordx2 v[59:60], v2, s[2:3]
	global_load_dwordx2 v[65:66], v0, s[2:3]
	v_lshlrev_b32_sdwa v2, v30, v43 dst_sel:DWORD dst_unused:UNUSED_PAD src0_sel:DWORD src1_sel:WORD_0
	v_lshlrev_b32_sdwa v0, v30, v44 dst_sel:DWORD dst_unused:UNUSED_PAD src0_sel:DWORD src1_sel:WORD_0
	s_clause 0x2
	global_load_dwordx2 v[67:68], v1, s[2:3]
	global_load_dwordx2 v[63:64], v2, s[2:3]
	;; [unrolled: 1-line block ×3, first 2 shown]
	v_lshlrev_b32_sdwa v87, v30, v86 dst_sel:DWORD dst_unused:UNUSED_PAD src0_sel:DWORD src1_sel:WORD_0
	v_lshrrev_b32_e32 v47, 19, v5
	v_lshrrev_b32_e32 v48, 19, v6
	;; [unrolled: 1-line block ×4, first 2 shown]
	v_add_nc_u32_e32 v24, 0x1200, v87
	v_add_nc_u32_e32 v23, 0x1c00, v87
	;; [unrolled: 1-line block ×4, first 2 shown]
	ds_read2_b64 v[0:3], v87 offset1:156
	ds_read2_b64 v[4:7], v24 offset0:48 offset1:204
	ds_read2_b64 v[8:11], v23 offset0:40 offset1:196
	;; [unrolled: 1-line block ×4, first 2 shown]
	v_mov_b32_e32 v45, 26
	v_lshrrev_b16 v46, 11, v34
	v_mad_u16 v37, v37, 26, v42
	v_mad_u16 v38, v38, 26, v43
	v_mad_u16 v39, v39, 26, v44
	v_mul_u32_u24_sdwa v35, v35, v45 dst_sel:DWORD dst_unused:UNUSED_PAD src0_sel:WORD_0 src1_sel:DWORD
	v_mul_lo_u16 v45, v46, 26
	v_mad_u16 v36, v36, 26, v40
	v_mul_lo_u16 v69, v50, 26
	v_lshlrev_b32_sdwa v93, v30, v37 dst_sel:DWORD dst_unused:UNUSED_PAD src0_sel:DWORD src1_sel:WORD_0
	v_lshlrev_b32_sdwa v92, v30, v38 dst_sel:DWORD dst_unused:UNUSED_PAD src0_sel:DWORD src1_sel:WORD_0
	v_sub_nc_u16 v45, v86, v45
	v_lshlrev_b32_sdwa v91, v30, v39 dst_sel:DWORD dst_unused:UNUSED_PAD src0_sel:DWORD src1_sel:WORD_0
	v_add_lshl_u32 v94, v35, v41, 3
	v_lshlrev_b32_sdwa v90, v30, v36 dst_sel:DWORD dst_unused:UNUSED_PAD src0_sel:DWORD src1_sel:WORD_0
	v_sub_nc_u16 v31, v31, v69
	v_and_b32_e32 v40, 0xff, v45
	v_mul_lo_u16 v51, v47, 26
	v_mul_lo_u16 v52, v48, 26
	;; [unrolled: 1-line block ×3, first 2 shown]
	s_waitcnt vmcnt(0) lgkmcnt(0)
	v_lshlrev_b32_e32 v35, 3, v40
	v_sub_nc_u16 v51, v18, v51
	v_sub_nc_u16 v52, v16, v52
	;; [unrolled: 1-line block ×3, first 2 shown]
	s_barrier
	buffer_gl0_inv
	v_lshlrev_b32_sdwa v42, v30, v51 dst_sel:DWORD dst_unused:UNUSED_PAD src0_sel:DWORD src1_sel:WORD_0
	v_lshlrev_b32_sdwa v43, v30, v52 dst_sel:DWORD dst_unused:UNUSED_PAD src0_sel:DWORD src1_sel:WORD_0
	v_add_nc_u32_e32 v81, 0x900, v87
	v_add_nc_u32_e32 v83, 0x2000, v87
	v_add_nc_u32_e32 v82, 0x1400, v87
	v_add_co_ci_u32_e64 v21, null, 0, 0, s0
	v_cmp_gt_u16_e64 s0, 52, v86
	v_mul_f32_e32 v37, v28, v60
	v_mul_f32_e32 v38, v7, v66
	;; [unrolled: 1-line block ×10, first 2 shown]
	v_fmac_f32_e32 v37, v29, v59
	v_fma_f32 v29, v6, v65, -v38
	v_fmac_f32_e32 v39, v7, v65
	v_fma_f32 v28, v28, v59, -v36
	v_fma_f32 v36, v8, v67, -v41
	v_fmac_f32_e32 v44, v9, v67
	v_fma_f32 v38, v10, v63, -v45
	v_fmac_f32_e32 v69, v11, v63
	;; [unrolled: 2-line block ×3, first 2 shown]
	v_sub_f32_e32 v8, v0, v29
	v_sub_f32_e32 v9, v1, v39
	;; [unrolled: 1-line block ×10, first 2 shown]
	v_fma_f32 v0, v0, 2.0, -v8
	v_fma_f32 v1, v1, 2.0, -v9
	v_fma_f32 v2, v2, 2.0, -v10
	v_fma_f32 v3, v3, 2.0, -v11
	v_fma_f32 v12, v12, 2.0, -v26
	v_fma_f32 v13, v13, 2.0, -v27
	v_fma_f32 v14, v14, 2.0, -v28
	v_fma_f32 v15, v15, 2.0, -v29
	v_fma_f32 v4, v4, 2.0, -v6
	v_fma_f32 v5, v5, 2.0, -v7
	ds_write2_b64 v94, v[0:1], v[8:9] offset1:13
	ds_write2_b64 v93, v[2:3], v[10:11] offset1:13
	ds_write2_b64 v92, v[12:13], v[26:27] offset1:13
	ds_write2_b64 v91, v[14:15], v[28:29] offset1:13
	ds_write2_b64 v90, v[4:5], v[6:7] offset1:13
	s_waitcnt lgkmcnt(0)
	s_barrier
	buffer_gl0_inv
	s_clause 0x1
	global_load_dwordx2 v[75:76], v35, s[2:3] offset:104
	global_load_dwordx2 v[77:78], v42, s[2:3] offset:104
	v_lshlrev_b32_sdwa v0, v30, v53 dst_sel:DWORD dst_unused:UNUSED_PAD src0_sel:DWORD src1_sel:WORD_0
	v_lshlrev_b32_sdwa v1, v30, v31 dst_sel:DWORD dst_unused:UNUSED_PAD src0_sel:DWORD src1_sel:WORD_0
	s_clause 0x2
	global_load_dwordx2 v[73:74], v43, s[2:3] offset:104
	global_load_dwordx2 v[71:72], v0, s[2:3] offset:104
	;; [unrolled: 1-line block ×3, first 2 shown]
	v_lshrrev_b16 v38, 12, v34
	v_mov_b32_e32 v0, 52
	ds_read2_b64 v[4:7], v23 offset0:40 offset1:196
	ds_read2_b64 v[8:11], v22 offset0:96 offset1:252
	v_mad_u16 v14, v47, 52, v51
	v_mul_lo_u16 v1, v38, 52
	v_mul_u32_u24_sdwa v12, v46, v0 dst_sel:DWORD dst_unused:UNUSED_PAD src0_sel:WORD_0 src1_sel:DWORD
	v_mad_u16 v15, v48, 52, v52
	v_mad_u16 v26, v49, 52, v53
	;; [unrolled: 1-line block ×3, first 2 shown]
	v_sub_nc_u16 v13, v86, v1
	ds_read2_b64 v[0:3], v24 offset0:48 offset1:204
	v_add_lshl_u32 v99, v12, v40, 3
	v_lshlrev_b32_sdwa v98, v30, v14 dst_sel:DWORD dst_unused:UNUSED_PAD src0_sel:DWORD src1_sel:WORD_0
	v_lshlrev_b32_sdwa v97, v30, v15 dst_sel:DWORD dst_unused:UNUSED_PAD src0_sel:DWORD src1_sel:WORD_0
	v_and_b32_e32 v42, 0xff, v13
	v_lshlrev_b32_sdwa v96, v30, v26 dst_sel:DWORD dst_unused:UNUSED_PAD src0_sel:DWORD src1_sel:WORD_0
	v_lshlrev_b32_sdwa v95, v30, v27 dst_sel:DWORD dst_unused:UNUSED_PAD src0_sel:DWORD src1_sel:WORD_0
	ds_read2_b64 v[12:15], v87 offset1:156
	ds_read2_b64 v[26:29], v25 offset0:56 offset1:212
	s_waitcnt vmcnt(0) lgkmcnt(0)
	v_mad_u64_u32 v[30:31], null, 0x48, v42, s[2:3]
	s_barrier
	buffer_gl0_inv
	v_mul_f32_e32 v34, v3, v76
	v_mul_f32_e32 v35, v2, v76
	;; [unrolled: 1-line block ×10, first 2 shown]
	v_fma_f32 v2, v2, v75, -v34
	v_fmac_f32_e32 v35, v3, v75
	v_fma_f32 v4, v4, v77, -v36
	v_fmac_f32_e32 v37, v5, v77
	;; [unrolled: 2-line block ×5, first 2 shown]
	v_sub_f32_e32 v2, v12, v2
	v_sub_f32_e32 v3, v13, v35
	;; [unrolled: 1-line block ×10, first 2 shown]
	v_fma_f32 v12, v12, 2.0, -v2
	v_fma_f32 v13, v13, 2.0, -v3
	;; [unrolled: 1-line block ×10, first 2 shown]
	ds_write2_b64 v99, v[12:13], v[2:3] offset1:26
	ds_write2_b64 v98, v[14:15], v[4:5] offset1:26
	;; [unrolled: 1-line block ×5, first 2 shown]
	s_waitcnt lgkmcnt(0)
	s_barrier
	buffer_gl0_inv
	s_clause 0x4
	global_load_dwordx4 v[12:15], v[30:31], off offset:312
	global_load_dwordx4 v[8:11], v[30:31], off offset:328
	;; [unrolled: 1-line block ×4, first 2 shown]
	global_load_dwordx2 v[79:80], v[30:31], off offset:376
	v_mov_b32_e32 v30, 0x208
	ds_read2_b64 v[26:29], v87 offset1:156
	ds_read2_b64 v[34:37], v25 offset0:56 offset1:212
	v_mul_u32_u24_sdwa v25, v38, v30 dst_sel:DWORD dst_unused:UNUSED_PAD src0_sel:WORD_0 src1_sel:DWORD
	ds_read2_b64 v[38:41], v24 offset0:48 offset1:204
	v_add_lshl_u32 v89, v25, v42, 3
	ds_read2_b64 v[42:45], v23 offset0:40 offset1:196
	ds_read2_b64 v[22:25], v22 offset0:96 offset1:252
	s_waitcnt vmcnt(0) lgkmcnt(0)
	s_barrier
	v_add_nc_u32_e32 v46, 0x400, v89
	v_add_nc_u32_e32 v47, 0x800, v89
	buffer_gl0_inv
	v_mul_f32_e32 v30, v29, v13
	v_mul_f32_e32 v31, v28, v13
	;; [unrolled: 1-line block ×18, first 2 shown]
	v_fma_f32 v28, v28, v12, -v30
	v_fmac_f32_e32 v31, v29, v12
	v_fma_f32 v29, v34, v14, -v48
	v_fmac_f32_e32 v49, v35, v14
	v_fma_f32 v30, v36, v8, -v50
	v_fmac_f32_e32 v51, v37, v8
	v_fma_f32 v34, v38, v10, -v52
	v_fmac_f32_e32 v53, v39, v10
	v_fma_f32 v35, v40, v4, -v84
	v_fmac_f32_e32 v100, v41, v4
	v_fma_f32 v36, v42, v6, -v101
	v_fmac_f32_e32 v102, v43, v6
	v_fma_f32 v37, v44, v0, -v103
	v_fmac_f32_e32 v104, v45, v0
	v_fma_f32 v22, v22, v2, -v105
	v_fmac_f32_e32 v106, v23, v2
	v_fma_f32 v23, v24, v79, -v107
	v_fmac_f32_e32 v108, v25, v79
	v_add_f32_e32 v24, v26, v29
	v_add_f32_e32 v25, v34, v36
	v_sub_f32_e32 v40, v29, v34
	v_sub_f32_e32 v41, v22, v36
	v_add_f32_e32 v42, v29, v22
	v_add_f32_e32 v45, v27, v49
	v_sub_f32_e32 v52, v49, v53
	v_sub_f32_e32 v84, v106, v102
	v_add_f32_e32 v105, v28, v30
	v_add_f32_e32 v107, v35, v37
	;; [unrolled: 1-line block ×6, first 2 shown]
	v_sub_f32_e32 v38, v49, v106
	v_sub_f32_e32 v39, v53, v102
	;; [unrolled: 1-line block ×4, first 2 shown]
	v_add_f32_e32 v48, v53, v102
	v_sub_f32_e32 v50, v34, v36
	v_add_f32_e32 v101, v49, v106
	v_sub_f32_e32 v49, v53, v49
	v_sub_f32_e32 v109, v51, v108
	;; [unrolled: 1-line block ×6, first 2 shown]
	v_add_f32_e32 v24, v24, v34
	v_fma_f32 v34, -0.5, v25, v26
	v_add_f32_e32 v25, v40, v41
	v_fma_f32 v41, -0.5, v42, v26
	v_add_f32_e32 v40, v45, v53
	v_add_f32_e32 v42, v52, v84
	;; [unrolled: 1-line block ×3, first 2 shown]
	v_fma_f32 v45, -0.5, v107, v28
	v_add_f32_e32 v52, v116, v100
	v_fma_f32 v53, -0.5, v117, v31
	v_sub_f32_e32 v110, v100, v104
	v_fmac_f32_e32 v28, -0.5, v113
	v_fmac_f32_e32 v31, -0.5, v121
	v_sub_f32_e32 v103, v102, v106
	v_sub_f32_e32 v112, v23, v37
	;; [unrolled: 1-line block ×6, first 2 shown]
	v_add_f32_e32 v26, v43, v44
	v_fma_f32 v43, -0.5, v101, v27
	v_add_f32_e32 v35, v35, v37
	v_fmamk_f32 v37, v109, 0x3f737871, v45
	v_add_f32_e32 v52, v52, v104
	v_fmamk_f32 v104, v30, 0xbf737871, v53
	v_sub_f32_e32 v51, v100, v51
	v_add_f32_e32 v24, v24, v36
	v_add_f32_e32 v36, v40, v102
	v_fmamk_f32 v40, v110, 0xbf737871, v28
	v_fmac_f32_e32 v28, 0x3f737871, v110
	v_fmamk_f32 v105, v118, 0x3f737871, v31
	v_fmac_f32_e32 v31, 0xbf737871, v118
	v_fmac_f32_e32 v45, 0xbf737871, v109
	;; [unrolled: 1-line block ×3, first 2 shown]
	v_sub_f32_e32 v29, v29, v22
	v_fma_f32 v44, -0.5, v48, v27
	v_add_f32_e32 v27, v49, v103
	v_add_f32_e32 v48, v111, v112
	;; [unrolled: 1-line block ×3, first 2 shown]
	v_fmamk_f32 v100, v38, 0x3f737871, v34
	v_fmac_f32_e32 v34, 0xbf737871, v38
	v_fmamk_f32 v103, v50, 0x3f737871, v43
	v_fmac_f32_e32 v43, 0xbf737871, v50
	v_fmac_f32_e32 v37, 0x3f167918, v110
	;; [unrolled: 1-line block ×3, first 2 shown]
	v_add_f32_e32 v49, v114, v115
	v_add_f32_e32 v51, v51, v122
	v_fmamk_f32 v101, v39, 0xbf737871, v41
	v_fmac_f32_e32 v41, 0x3f737871, v39
	v_fmac_f32_e32 v40, 0x3f167918, v109
	;; [unrolled: 1-line block ×7, first 2 shown]
	v_fmamk_f32 v102, v29, 0xbf737871, v44
	v_fmac_f32_e32 v44, 0x3f737871, v29
	v_fmac_f32_e32 v100, 0x3f167918, v39
	;; [unrolled: 1-line block ×3, first 2 shown]
	v_add_f32_e32 v36, v36, v106
	v_fmac_f32_e32 v103, 0xbf167918, v29
	v_fmac_f32_e32 v43, 0x3f167918, v29
	v_add_f32_e32 v29, v35, v23
	v_add_f32_e32 v35, v52, v108
	v_fmac_f32_e32 v37, 0x3e9e377a, v48
	v_fmac_f32_e32 v104, 0x3e9e377a, v84
	v_add_f32_e32 v24, v24, v22
	v_fmac_f32_e32 v101, 0x3f167918, v38
	v_fmac_f32_e32 v41, 0xbf167918, v38
	;; [unrolled: 1-line block ×11, first 2 shown]
	v_add_f32_e32 v23, v36, v35
	v_sub_f32_e32 v25, v36, v35
	v_mul_f32_e32 v35, 0x3f167918, v104
	v_mul_f32_e32 v48, 0xbf167918, v37
	v_fmac_f32_e32 v44, 0x3f167918, v50
	v_fmac_f32_e32 v101, 0x3e9e377a, v26
	;; [unrolled: 1-line block ×3, first 2 shown]
	v_add_f32_e32 v22, v24, v29
	v_sub_f32_e32 v24, v24, v29
	v_mul_f32_e32 v39, 0x3f737871, v105
	v_mul_f32_e32 v26, 0x3e9e377a, v28
	;; [unrolled: 1-line block ×4, first 2 shown]
	v_fmac_f32_e32 v103, 0x3e9e377a, v27
	v_fmac_f32_e32 v43, 0x3e9e377a, v27
	v_mul_f32_e32 v27, 0x3f4f1bbd, v45
	v_mul_f32_e32 v30, 0x3f4f1bbd, v53
	v_fmac_f32_e32 v102, 0x3e9e377a, v42
	v_fmac_f32_e32 v35, 0x3f4f1bbd, v37
	;; [unrolled: 1-line block ×5, first 2 shown]
	v_fma_f32 v42, 0x3f737871, v31, -v26
	v_fmac_f32_e32 v49, 0x3e9e377a, v105
	v_fma_f32 v51, 0xbf737871, v28, -v29
	v_fma_f32 v50, 0x3f167918, v53, -v27
	;; [unrolled: 1-line block ×3, first 2 shown]
	v_add_f32_e32 v26, v100, v35
	v_add_f32_e32 v27, v102, v48
	;; [unrolled: 1-line block ×8, first 2 shown]
	v_sub_f32_e32 v38, v100, v35
	v_sub_f32_e32 v40, v101, v39
	v_sub_f32_e32 v42, v41, v42
	v_sub_f32_e32 v39, v102, v48
	v_sub_f32_e32 v41, v103, v49
	v_sub_f32_e32 v34, v34, v50
	v_sub_f32_e32 v43, v43, v51
	v_sub_f32_e32 v35, v44, v45
	ds_write2_b64 v89, v[22:23], v[26:27] offset1:52
	ds_write2_b64 v89, v[28:29], v[30:31] offset0:104 offset1:156
	ds_write2_b64 v46, v[36:37], v[24:25] offset0:80 offset1:132
	;; [unrolled: 1-line block ×4, first 2 shown]
	s_waitcnt lgkmcnt(0)
	s_barrier
	buffer_gl0_inv
	ds_read2_b64 v[40:43], v87 offset1:156
	ds_read2_b64 v[36:39], v81 offset0:24 offset1:232
	ds_read2_b64 v[48:51], v83 offset0:16 offset1:172
	;; [unrolled: 1-line block ×3, first 2 shown]
	ds_read_b64 v[52:53], v87 offset:10816
	s_and_saveexec_b32 s1, s0
	s_cbranch_execz .LBB0_9
; %bb.8:
	ds_read_b64 v[34:35], v87 offset:3744
	ds_read_b64 v[54:55], v87 offset:7904
	;; [unrolled: 1-line block ×3, first 2 shown]
.LBB0_9:
	s_or_b32 exec_lo, exec_lo, s1
	v_lshlrev_b32_e32 v22, 4, v86
	v_lshlrev_b64 v[18:19], 4, v[18:19]
	v_lshlrev_b64 v[16:17], 4, v[16:17]
	v_add_co_u32 v22, s1, s2, v22
	v_add_co_ci_u32_e64 v23, null, s3, 0, s1
	v_add_co_u32 v22, s1, 0x800, v22
	v_add_co_ci_u32_e64 v23, s1, 0, v23, s1
	v_add_co_u32 v18, s1, s2, v18
	v_add_co_ci_u32_e64 v19, s1, s3, v19, s1
	global_load_dwordx4 v[24:27], v[22:23], off offset:2008
	v_add_co_u32 v18, s1, 0x800, v18
	v_add_co_ci_u32_e64 v19, s1, 0, v19, s1
	v_add_co_u32 v16, s1, s2, v16
	v_add_co_ci_u32_e64 v17, s1, s3, v17, s1
	global_load_dwordx4 v[28:31], v[18:19], off offset:2008
	v_add_co_u32 v22, s1, 0xffffffcc, v86
	v_add_co_ci_u32_e64 v23, null, 0, -1, s1
	v_add_co_u32 v16, s1, 0x800, v16
	v_add_co_ci_u32_e64 v17, s1, 0, v17, s1
	v_cndmask_b32_e64 v19, v23, v21, s0
	v_cndmask_b32_e64 v18, v22, v20, s0
	global_load_dwordx4 v[20:23], v[16:17], off offset:2008
	v_lshlrev_b64 v[16:17], 4, v[18:19]
	v_add_co_u32 v16, s1, s2, v16
	v_add_co_ci_u32_e64 v17, s1, s3, v17, s1
	v_add_co_u32 v16, s1, 0x800, v16
	v_add_co_ci_u32_e64 v17, s1, 0, v17, s1
	global_load_dwordx4 v[16:19], v[16:17], off offset:2008
	s_waitcnt vmcnt(3) lgkmcnt(3)
	v_mul_f32_e32 v84, v39, v25
	v_mul_f32_e32 v100, v38, v25
	s_waitcnt lgkmcnt(2)
	v_mul_f32_e32 v102, v48, v27
	v_mul_f32_e32 v101, v49, v27
	v_fma_f32 v38, v38, v24, -v84
	v_fmac_f32_e32 v100, v39, v24
	v_fmac_f32_e32 v102, v49, v26
	v_fma_f32 v39, v48, v26, -v101
	s_waitcnt vmcnt(2) lgkmcnt(1)
	v_mul_f32_e32 v103, v45, v29
	v_mul_f32_e32 v105, v51, v31
	;; [unrolled: 1-line block ×4, first 2 shown]
	v_add_f32_e32 v49, v38, v39
	v_fma_f32 v44, v44, v28, -v103
	v_fma_f32 v48, v50, v30, -v105
	v_fmac_f32_e32 v106, v51, v30
	v_sub_f32_e32 v50, v100, v102
	v_add_f32_e32 v51, v41, v100
	v_fmac_f32_e32 v104, v45, v28
	v_add_f32_e32 v105, v42, v44
	s_waitcnt vmcnt(1)
	v_mul_f32_e32 v108, v46, v21
	s_waitcnt lgkmcnt(0)
	v_mul_f32_e32 v110, v52, v23
	v_mul_f32_e32 v107, v47, v21
	;; [unrolled: 1-line block ×3, first 2 shown]
	v_sub_f32_e32 v112, v44, v48
	v_fmac_f32_e32 v108, v47, v20
	v_fmac_f32_e32 v110, v53, v22
	v_add_f32_e32 v47, v40, v38
	v_add_f32_e32 v53, v100, v102
	v_fma_f32 v45, v46, v20, -v107
	v_fma_f32 v46, v52, v22, -v109
	v_sub_f32_e32 v38, v38, v39
	v_add_f32_e32 v107, v44, v48
	v_add_f32_e32 v44, v47, v39
	v_sub_f32_e32 v109, v104, v106
	v_add_f32_e32 v111, v43, v104
	v_add_f32_e32 v104, v104, v106
	;; [unrolled: 1-line block ×3, first 2 shown]
	v_sub_f32_e32 v115, v108, v110
	v_add_f32_e32 v116, v37, v108
	v_add_f32_e32 v108, v108, v110
	s_waitcnt vmcnt(0)
	v_mul_f32_e32 v84, v55, v17
	v_mul_f32_e32 v100, v54, v17
	;; [unrolled: 1-line block ×4, first 2 shown]
	v_fma_f32 v53, -0.5, v53, v41
	v_fma_f32 v39, v54, v16, -v84
	v_fmac_f32_e32 v100, v55, v16
	v_fma_f32 v32, v32, v18, -v101
	v_fmac_f32_e32 v103, v33, v18
	v_add_f32_e32 v113, v36, v45
	v_sub_f32_e32 v117, v45, v46
	v_fma_f32 v52, -0.5, v49, v40
	v_add_f32_e32 v33, v39, v32
	v_add_f32_e32 v84, v100, v103
	v_add_f32_e32 v45, v51, v102
	v_fma_f32 v42, -0.5, v107, v42
	v_fmac_f32_e32 v43, -0.5, v104
	v_fma_f32 v36, -0.5, v114, v36
	v_fmac_f32_e32 v37, -0.5, v108
	v_fmamk_f32 v47, v38, 0xbf5db3d7, v53
	v_fmac_f32_e32 v53, 0x3f5db3d7, v38
	v_add_f32_e32 v38, v34, v39
	v_sub_f32_e32 v101, v100, v103
	v_add_f32_e32 v100, v35, v100
	v_fmac_f32_e32 v34, -0.5, v33
	v_sub_f32_e32 v102, v39, v32
	v_fmac_f32_e32 v35, -0.5, v84
	v_add_f32_e32 v54, v105, v48
	v_add_f32_e32 v55, v111, v106
	;; [unrolled: 1-line block ×4, first 2 shown]
	v_fmamk_f32 v46, v50, 0x3f5db3d7, v52
	v_fmac_f32_e32 v52, 0xbf5db3d7, v50
	v_fmamk_f32 v40, v109, 0x3f5db3d7, v42
	v_fmac_f32_e32 v42, 0xbf5db3d7, v109
	;; [unrolled: 2-line block ×5, first 2 shown]
	v_add_f32_e32 v38, v38, v32
	v_add_f32_e32 v39, v100, v103
	v_fmamk_f32 v32, v101, 0x3f5db3d7, v34
	v_fmac_f32_e32 v34, 0xbf5db3d7, v101
	v_fmamk_f32 v33, v102, 0xbf5db3d7, v35
	v_fmac_f32_e32 v35, 0x3f5db3d7, v102
	ds_write2_b64 v87, v[44:45], v[54:55] offset1:156
	ds_write2_b64 v83, v[52:53], v[42:43] offset0:16 offset1:172
	ds_write2_b64 v81, v[48:49], v[46:47] offset0:24 offset1:232
	ds_write2_b64 v82, v[40:41], v[50:51] offset0:36 offset1:192
	ds_write_b64 v87, v[36:37] offset:10816
	s_and_saveexec_b32 s1, s0
	s_cbranch_execz .LBB0_11
; %bb.10:
	ds_write_b64 v87, v[38:39] offset:3744
	ds_write_b64 v87, v[32:33] offset:7904
	;; [unrolled: 1-line block ×3, first 2 shown]
.LBB0_11:
	s_or_b32 exec_lo, exec_lo, s1
	s_waitcnt lgkmcnt(0)
	s_barrier
	buffer_gl0_inv
	s_and_saveexec_b32 s2, vcc_lo
	s_cbranch_execz .LBB0_13
; %bb.12:
	v_add_co_u32 v106, s1, s14, v85
	v_add_co_ci_u32_e64 v107, null, s15, 0, s1
	v_add_nc_u32_e32 v145, 0x800, v85
	v_add_co_u32 v81, s1, 0x3000, v106
	v_add_co_ci_u32_e64 v82, s1, 0, v107, s1
	v_add_co_u32 v83, s1, 0x30c0, v106
	v_add_co_ci_u32_e64 v84, s1, 0, v107, s1
	global_load_dwordx2 v[81:82], v[81:82], off offset:192
	v_add_co_u32 v100, s1, 0x3800, v106
	v_add_co_ci_u32_e64 v101, s1, 0, v107, s1
	v_add_co_u32 v102, s1, 0x4000, v106
	v_add_co_ci_u32_e64 v103, s1, 0, v107, s1
	;; [unrolled: 2-line block ×3, first 2 shown]
	s_clause 0x3
	global_load_dwordx2 v[120:121], v[83:84], off offset:960
	global_load_dwordx2 v[122:123], v[100:101], off offset:1024
	;; [unrolled: 1-line block ×4, first 2 shown]
	v_add_co_u32 v83, s1, 0x5000, v106
	v_add_co_ci_u32_e64 v84, s1, 0, v107, s1
	v_add_co_u32 v100, s1, 0x5800, v106
	v_add_co_ci_u32_e64 v101, s1, 0, v107, s1
	s_clause 0x7
	global_load_dwordx2 v[128:129], v[102:103], off offset:896
	global_load_dwordx2 v[130:131], v[102:103], off offset:1856
	;; [unrolled: 1-line block ×8, first 2 shown]
	ds_read_b64 v[83:84], v87
	v_add_nc_u32_e32 v146, 0x1000, v85
	v_add_nc_u32_e32 v147, 0x1800, v85
	;; [unrolled: 1-line block ×4, first 2 shown]
	s_waitcnt vmcnt(12) lgkmcnt(0)
	v_mul_f32_e32 v100, v84, v82
	v_mul_f32_e32 v101, v83, v82
	v_fma_f32 v100, v83, v81, -v100
	v_fmac_f32_e32 v101, v84, v81
	ds_write_b64 v87, v[100:101]
	ds_read2_b64 v[81:84], v85 offset0:120 offset1:240
	ds_read2_b64 v[100:103], v145 offset0:104 offset1:224
	;; [unrolled: 1-line block ×6, first 2 shown]
	s_waitcnt vmcnt(11) lgkmcnt(5)
	v_mul_f32_e32 v150, v82, v121
	v_mul_f32_e32 v144, v81, v121
	s_waitcnt vmcnt(9)
	v_mul_f32_e32 v151, v84, v125
	v_mul_f32_e32 v121, v83, v125
	s_waitcnt lgkmcnt(4)
	v_mul_f32_e32 v152, v101, v123
	v_mul_f32_e32 v125, v100, v123
	s_waitcnt vmcnt(8)
	v_mul_f32_e32 v153, v103, v127
	v_mul_f32_e32 v123, v102, v127
	s_waitcnt vmcnt(7) lgkmcnt(3)
	v_mul_f32_e32 v154, v105, v129
	v_mul_f32_e32 v127, v104, v129
	s_waitcnt vmcnt(6)
	v_mul_f32_e32 v155, v107, v131
	v_mul_f32_e32 v129, v106, v131
	s_waitcnt vmcnt(5) lgkmcnt(2)
	;; [unrolled: 6-line block ×4, first 2 shown]
	v_mul_f32_e32 v160, v117, v141
	v_mul_f32_e32 v139, v116, v141
	s_waitcnt vmcnt(0)
	v_mul_f32_e32 v161, v119, v143
	v_mul_f32_e32 v141, v118, v143
	v_fma_f32 v143, v81, v120, -v150
	v_fmac_f32_e32 v144, v82, v120
	v_fma_f32 v120, v83, v124, -v151
	v_fmac_f32_e32 v121, v84, v124
	;; [unrolled: 2-line block ×12, first 2 shown]
	ds_write2_b64 v85, v[143:144], v[120:121] offset0:120 offset1:240
	ds_write2_b64 v145, v[124:125], v[122:123] offset0:104 offset1:224
	ds_write2_b64 v146, v[126:127], v[128:129] offset0:88 offset1:208
	ds_write2_b64 v147, v[130:131], v[132:133] offset0:72 offset1:192
	ds_write2_b64 v148, v[134:135], v[136:137] offset0:56 offset1:176
	ds_write2_b64 v149, v[138:139], v[140:141] offset0:40 offset1:160
.LBB0_13:
	s_or_b32 exec_lo, exec_lo, s2
	s_waitcnt lgkmcnt(0)
	s_barrier
	buffer_gl0_inv
	s_and_saveexec_b32 s1, vcc_lo
	s_cbranch_execz .LBB0_15
; %bb.14:
	v_add_nc_u32_e32 v32, 0x400, v87
	v_add_nc_u32_e32 v33, 0xc00, v87
	;; [unrolled: 1-line block ×5, first 2 shown]
	ds_read2_b64 v[44:47], v87 offset1:120
	ds_read2_b64 v[52:55], v32 offset0:112 offset1:232
	ds_read2_b64 v[40:43], v33 offset0:96 offset1:216
	;; [unrolled: 1-line block ×5, first 2 shown]
	ds_read_b64 v[57:58], v87 offset:11520
.LBB0_15:
	s_or_b32 exec_lo, exec_lo, s1
	s_waitcnt lgkmcnt(0)
	v_sub_f32_e32 v112, v47, v58
	v_add_f32_e32 v116, v58, v47
	v_add_f32_e32 v100, v57, v46
	v_sub_f32_e32 v113, v53, v35
	v_sub_f32_e32 v102, v46, v57
	v_mul_f32_e32 v119, 0xbf52af12, v112
	v_mul_f32_e32 v125, 0x3f116cb1, v116
	v_add_f32_e32 v101, v34, v52
	v_add_f32_e32 v118, v35, v53
	v_mul_f32_e32 v131, 0xbf7e222b, v112
	v_fma_f32 v81, 0x3f116cb1, v100, -v119
	v_mul_f32_e32 v135, 0x3df6dbef, v116
	v_mul_f32_e32 v124, 0xbf6f5d39, v113
	v_fmamk_f32 v82, v102, 0xbf52af12, v125
	v_fma_f32 v83, 0x3df6dbef, v100, -v131
	v_add_f32_e32 v81, v44, v81
	v_fmamk_f32 v84, v102, 0xbf7e222b, v135
	v_fma_f32 v104, 0xbeb58ec6, v101, -v124
	v_sub_f32_e32 v103, v52, v34
	v_mul_f32_e32 v128, 0xbeb58ec6, v118
	v_sub_f32_e32 v114, v55, v33
	v_mul_f32_e32 v134, 0xbe750f2a, v113
	v_mul_f32_e32 v140, 0xbf788fa5, v118
	v_add_f32_e32 v122, v33, v55
	v_add_f32_e32 v82, v45, v82
	;; [unrolled: 1-line block ×5, first 2 shown]
	v_fmamk_f32 v106, v103, 0xbf6f5d39, v128
	v_add_f32_e32 v104, v32, v54
	v_mul_f32_e32 v127, 0xbe750f2a, v114
	v_fma_f32 v107, 0xbf788fa5, v101, -v134
	v_fmamk_f32 v108, v103, 0xbe750f2a, v140
	v_sub_f32_e32 v105, v54, v32
	v_mul_f32_e32 v130, 0xbf788fa5, v122
	v_add_f32_e32 v120, v39, v41
	v_fma_f32 v109, 0xbf788fa5, v104, -v127
	v_add_f32_e32 v82, v106, v82
	v_add_f32_e32 v83, v107, v83
	;; [unrolled: 1-line block ×3, first 2 shown]
	v_fmamk_f32 v108, v105, 0xbe750f2a, v130
	v_sub_f32_e32 v115, v41, v39
	v_mul_f32_e32 v136, 0x3f6f5d39, v114
	v_mul_f32_e32 v143, 0xbeb58ec6, v122
	v_sub_f32_e32 v107, v40, v38
	v_mul_f32_e32 v132, 0xbf3f9e67, v120
	v_add_f32_e32 v81, v109, v81
	v_add_f32_e32 v106, v38, v40
	v_mul_f32_e32 v129, 0x3f29c268, v115
	v_fma_f32 v109, 0xbeb58ec6, v104, -v136
	v_fmamk_f32 v110, v105, 0x3f6f5d39, v143
	v_add_f32_e32 v82, v108, v82
	v_fmamk_f32 v108, v107, 0x3f29c268, v132
	v_mul_f32_e32 v139, 0x3eedf032, v115
	v_sub_f32_e32 v117, v43, v37
	v_fma_f32 v111, 0xbf3f9e67, v106, -v129
	v_add_f32_e32 v83, v109, v83
	v_add_f32_e32 v84, v110, v84
	;; [unrolled: 1-line block ×4, first 2 shown]
	v_fma_f32 v110, 0x3f62ad3f, v106, -v139
	v_add_f32_e32 v108, v36, v42
	v_mul_f32_e32 v133, 0x3f7e222b, v117
	v_mul_f32_e32 v141, 0xbf52af12, v117
	v_add_f32_e32 v81, v111, v81
	v_mul_f32_e32 v145, 0x3f62ad3f, v120
	v_sub_f32_e32 v109, v42, v36
	v_mul_f32_e32 v137, 0x3df6dbef, v123
	v_fma_f32 v121, 0x3df6dbef, v108, -v133
	v_add_f32_e32 v83, v110, v83
	v_fma_f32 v126, 0x3f116cb1, v108, -v141
	v_fmamk_f32 v111, v107, 0x3eedf032, v145
	v_fmamk_f32 v110, v109, 0x3f7e222b, v137
	v_add_f32_e32 v81, v121, v81
	v_mul_f32_e32 v146, 0x3f116cb1, v123
	v_add_f32_e32 v83, v126, v83
	v_sub_f32_e32 v121, v49, v51
	v_add_f32_e32 v126, v51, v49
	v_add_f32_e32 v84, v111, v84
	;; [unrolled: 1-line block ×3, first 2 shown]
	v_fmamk_f32 v148, v109, 0xbf52af12, v146
	v_add_f32_e32 v110, v50, v48
	v_sub_f32_e32 v111, v48, v50
	v_mul_f32_e32 v138, 0x3eedf032, v121
	v_mul_f32_e32 v142, 0x3f62ad3f, v126
	;; [unrolled: 1-line block ×4, first 2 shown]
	v_add_f32_e32 v84, v148, v84
	v_fma_f32 v148, 0x3f62ad3f, v110, -v138
	v_fmamk_f32 v149, v111, 0x3eedf032, v142
	v_fma_f32 v150, 0xbf3f9e67, v110, -v144
	v_fmamk_f32 v151, v111, 0xbf29c268, v147
	v_add_f32_e32 v81, v148, v81
	v_add_f32_e32 v82, v149, v82
	;; [unrolled: 1-line block ×4, first 2 shown]
	s_barrier
	buffer_gl0_inv
	s_and_saveexec_b32 s1, vcc_lo
	s_cbranch_execz .LBB0_17
; %bb.16:
	v_mul_f32_e32 v150, 0xbf29c268, v102
	v_mul_f32_e32 v151, 0x3f7e222b, v103
	v_mul_f32_e32 v152, 0xbf52af12, v105
	v_mul_f32_e32 v153, 0x3e750f2a, v107
	v_mul_f32_e32 v176, 0xbf29c268, v112
	v_fmamk_f32 v148, v116, 0xbf3f9e67, v150
	v_fmamk_f32 v149, v118, 0x3df6dbef, v151
	v_mul_f32_e32 v177, 0x3eedf032, v109
	v_mul_f32_e32 v180, 0x3f7e222b, v113
	v_fma_f32 v179, 0xbf3f9e67, v100, -v176
	v_add_f32_e32 v148, v45, v148
	v_mul_f32_e32 v183, 0xbf52af12, v114
	v_mul_f32_e32 v185, 0xbf788fa5, v116
	v_fma_f32 v182, 0x3df6dbef, v101, -v180
	v_add_f32_e32 v179, v44, v179
	v_add_f32_e32 v148, v149, v148
	v_fmamk_f32 v149, v122, 0x3f116cb1, v152
	v_mul_f32_e32 v184, 0xbf6f5d39, v111
	v_fmamk_f32 v187, v102, 0x3e750f2a, v185
	v_mul_f32_e32 v188, 0x3f62ad3f, v118
	v_mul_f32_e32 v189, 0x3eedf032, v117
	v_add_f32_e32 v148, v149, v148
	v_fmamk_f32 v149, v120, 0xbf788fa5, v153
	v_fmamk_f32 v186, v126, 0xbeb58ec6, v184
	v_add_f32_e32 v187, v45, v187
	v_fmamk_f32 v190, v103, 0xbeedf032, v188
	v_mul_f32_e32 v191, 0xbf3f9e67, v122
	v_add_f32_e32 v148, v149, v148
	v_fmamk_f32 v149, v123, 0x3f62ad3f, v177
	v_fma_f32 v192, 0x3f62ad3f, v108, -v189
	v_mul_f32_e32 v193, 0xbeb58ec6, v123
	v_mul_f32_e32 v196, 0x3eedf032, v113
	v_fma_f32 v150, 0xbf3f9e67, v116, -v150
	v_add_f32_e32 v148, v149, v148
	v_add_f32_e32 v149, v182, v179
	v_fma_f32 v179, 0x3f116cb1, v104, -v183
	v_mul_f32_e32 v182, 0x3e750f2a, v115
	v_fmamk_f32 v197, v109, 0x3f6f5d39, v193
	v_mul_f32_e32 v198, 0x3f52af12, v115
	v_add_f32_e32 v150, v45, v150
	v_add_f32_e32 v149, v179, v149
	v_fma_f32 v179, 0xbf788fa5, v106, -v182
	v_fma_f32 v200, 0x3df6dbef, v118, -v151
	v_mul_f32_e32 v201, 0xbf6f5d39, v117
	v_fmac_f32_e32 v176, 0xbf3f9e67, v100
	v_fma_f32 v152, 0x3f116cb1, v122, -v152
	v_add_f32_e32 v179, v179, v149
	v_add_f32_e32 v149, v186, v148
	;; [unrolled: 1-line block ×3, first 2 shown]
	v_fmamk_f32 v186, v105, 0x3f29c268, v191
	v_mul_f32_e32 v187, 0x3f116cb1, v120
	v_add_f32_e32 v179, v192, v179
	v_mul_f32_e32 v190, 0xbf6f5d39, v121
	v_mul_f32_e32 v192, 0xbe750f2a, v112
	v_add_f32_e32 v148, v186, v148
	v_fmamk_f32 v186, v107, 0xbf52af12, v187
	v_add_f32_e32 v150, v200, v150
	v_fma_f32 v194, 0xbeb58ec6, v110, -v190
	v_fmamk_f32 v195, v100, 0xbf788fa5, v192
	v_add_f32_e32 v176, v44, v176
	v_add_f32_e32 v186, v186, v148
	v_fmac_f32_e32 v180, 0x3df6dbef, v101
	v_add_f32_e32 v148, v194, v179
	v_add_f32_e32 v179, v44, v195
	v_fmamk_f32 v194, v101, 0x3f62ad3f, v196
	v_mul_f32_e32 v195, 0xbf29c268, v114
	v_add_f32_e32 v186, v197, v186
	v_mul_f32_e32 v197, 0x3df6dbef, v126
	v_add_f32_e32 v47, v47, v45
	v_add_f32_e32 v179, v194, v179
	v_fmamk_f32 v194, v104, 0xbf3f9e67, v195
	v_add_f32_e32 v150, v152, v150
	v_fmamk_f32 v199, v111, 0xbf7e222b, v197
	v_fma_f32 v152, 0xbf788fa5, v120, -v153
	v_add_f32_e32 v176, v180, v176
	v_add_f32_e32 v179, v194, v179
	v_fmamk_f32 v194, v106, 0x3f116cb1, v198
	v_add_f32_e32 v151, v199, v186
	v_fmamk_f32 v186, v108, 0xbeb58ec6, v201
	v_fmac_f32_e32 v183, 0x3f116cb1, v104
	v_add_f32_e32 v47, v53, v47
	v_add_f32_e32 v179, v194, v179
	v_mul_f32_e32 v194, 0x3f7e222b, v121
	v_add_f32_e32 v46, v46, v44
	v_add_f32_e32 v152, v152, v150
	v_fma_f32 v177, 0x3f62ad3f, v123, -v177
	v_add_f32_e32 v153, v186, v179
	v_fmamk_f32 v179, v110, 0x3df6dbef, v194
	v_mul_f32_e32 v186, 0xbeb58ec6, v116
	v_add_f32_e32 v176, v183, v176
	v_fmac_f32_e32 v182, 0xbf788fa5, v106
	v_add_f32_e32 v47, v55, v47
	v_add_f32_e32 v150, v179, v153
	v_fmamk_f32 v153, v102, 0x3f6f5d39, v186
	v_mul_f32_e32 v179, 0xbf3f9e67, v118
	v_add_f32_e32 v46, v52, v46
	v_add_f32_e32 v152, v177, v152
	v_fma_f32 v183, 0xbeb58ec6, v126, -v184
	v_add_f32_e32 v153, v45, v153
	v_fmamk_f32 v177, v103, 0xbf29c268, v179
	v_add_f32_e32 v176, v182, v176
	v_fmac_f32_e32 v189, 0x3f62ad3f, v108
	v_mul_f32_e32 v52, 0xbeedf032, v112
	v_add_f32_e32 v41, v41, v47
	v_add_f32_e32 v46, v54, v46
	;; [unrolled: 1-line block ×5, first 2 shown]
	v_mul_f32_e32 v176, 0xbf6f5d39, v112
	v_fmamk_f32 v47, v100, 0x3f62ad3f, v52
	v_mul_f32_e32 v54, 0xbf52af12, v113
	v_add_f32_e32 v41, v43, v41
	v_add_f32_e32 v40, v40, v46
	v_fmac_f32_e32 v190, 0xbeb58ec6, v110
	v_fmamk_f32 v189, v100, 0xbeb58ec6, v176
	v_mul_f32_e32 v199, 0x3f29c268, v113
	v_add_f32_e32 v43, v44, v47
	v_fmamk_f32 v46, v101, 0x3f116cb1, v54
	v_mul_f32_e32 v47, 0xbf7e222b, v114
	v_add_f32_e32 v41, v49, v41
	v_add_f32_e32 v40, v42, v40
	v_mul_f32_e32 v157, 0xbf7e222b, v102
	v_add_f32_e32 v152, v190, v152
	v_add_f32_e32 v189, v44, v189
	v_fmamk_f32 v190, v101, 0xbf3f9e67, v199
	v_mul_f32_e32 v200, 0x3eedf032, v114
	v_add_f32_e32 v43, v46, v43
	v_fmamk_f32 v46, v104, 0x3df6dbef, v47
	v_add_f32_e32 v41, v51, v41
	v_add_f32_e32 v40, v48, v40
	v_mul_f32_e32 v48, 0xbf6f5d39, v115
	v_mul_f32_e32 v161, 0xbe750f2a, v103
	v_sub_f32_e32 v135, v135, v157
	v_add_f32_e32 v157, v190, v189
	v_fmamk_f32 v189, v104, 0x3f62ad3f, v200
	v_mul_f32_e32 v190, 0xbf7e222b, v115
	v_add_f32_e32 v43, v46, v43
	v_add_f32_e32 v41, v37, v41
	;; [unrolled: 1-line block ×3, first 2 shown]
	v_fmamk_f32 v46, v106, 0xbeb58ec6, v48
	v_mul_f32_e32 v50, 0xbf29c268, v117
	v_mul_f32_e32 v156, 0x3df6dbef, v100
	;; [unrolled: 1-line block ×3, first 2 shown]
	v_add_f32_e32 v203, v45, v135
	v_sub_f32_e32 v140, v140, v161
	v_add_f32_e32 v157, v189, v157
	v_fmamk_f32 v161, v106, 0x3df6dbef, v190
	v_mul_f32_e32 v189, 0x3e750f2a, v117
	v_add_f32_e32 v39, v39, v41
	v_add_f32_e32 v36, v36, v40
	;; [unrolled: 1-line block ×3, first 2 shown]
	v_fmamk_f32 v41, v108, 0xbf3f9e67, v50
	v_mul_f32_e32 v43, 0xbe750f2a, v121
	v_mul_f32_e32 v155, 0xbf52af12, v102
	;; [unrolled: 1-line block ×4, first 2 shown]
	v_add_f32_e32 v140, v140, v203
	v_sub_f32_e32 v143, v143, v165
	v_add_f32_e32 v157, v161, v157
	v_fmamk_f32 v161, v108, 0xbf788fa5, v189
	v_mul_f32_e32 v165, 0x3f52af12, v121
	v_add_f32_e32 v131, v156, v131
	v_add_f32_e32 v33, v33, v39
	;; [unrolled: 1-line block ×3, first 2 shown]
	v_fmac_f32_e32 v185, 0xbe750f2a, v102
	v_add_f32_e32 v38, v41, v40
	v_fmamk_f32 v39, v110, 0xbf788fa5, v43
	v_mul_f32_e32 v159, 0xbf6f5d39, v103
	v_mul_f32_e32 v164, 0xbeb58ec6, v104
	v_add_f32_e32 v140, v143, v140
	v_sub_f32_e32 v143, v145, v169
	v_add_f32_e32 v145, v161, v157
	v_fmamk_f32 v156, v110, 0x3f116cb1, v165
	v_add_f32_e32 v131, v44, v131
	v_add_f32_e32 v157, v160, v134
	v_sub_f32_e32 v125, v125, v155
	v_add_f32_e32 v33, v35, v33
	v_add_f32_e32 v32, v32, v36
	;; [unrolled: 1-line block ×3, first 2 shown]
	v_fmac_f32_e32 v188, 0x3eedf032, v103
	v_add_f32_e32 v36, v39, v38
	v_fma_f32 v38, 0xbf788fa5, v100, -v192
	v_mul_f32_e32 v154, 0x3f116cb1, v100
	v_mul_f32_e32 v163, 0xbe750f2a, v105
	;; [unrolled: 1-line block ×3, first 2 shown]
	v_add_f32_e32 v134, v156, v145
	v_add_f32_e32 v131, v157, v131
	v_add_f32_e32 v136, v164, v136
	v_add_f32_e32 v145, v45, v125
	v_sub_f32_e32 v128, v128, v159
	v_add_f32_e32 v32, v34, v32
	v_add_f32_e32 v34, v188, v35
	v_fmac_f32_e32 v191, 0xbf29c268, v105
	v_add_f32_e32 v35, v44, v38
	v_fma_f32 v38, 0x3f62ad3f, v101, -v196
	v_fmac_f32_e32 v186, 0xbf6f5d39, v102
	v_mul_f32_e32 v158, 0xbeb58ec6, v101
	v_mul_f32_e32 v167, 0x3f29c268, v107
	;; [unrolled: 1-line block ×4, first 2 shown]
	v_add_f32_e32 v131, v136, v131
	v_add_f32_e32 v136, v168, v139
	;; [unrolled: 1-line block ×4, first 2 shown]
	v_sub_f32_e32 v130, v130, v163
	v_add_f32_e32 v34, v191, v34
	v_fmac_f32_e32 v187, 0x3f52af12, v107
	v_add_f32_e32 v35, v38, v35
	v_fma_f32 v38, 0xbf3f9e67, v104, -v195
	v_add_f32_e32 v39, v45, v186
	v_fmac_f32_e32 v179, 0x3f29c268, v103
	v_mul_f32_e32 v162, 0xbf788fa5, v104
	v_mul_f32_e32 v171, 0x3f7e222b, v109
	;; [unrolled: 1-line block ×3, first 2 shown]
	v_fmamk_f32 v182, v105, 0xbeedf032, v180
	v_mul_f32_e32 v184, 0x3df6dbef, v120
	v_add_f32_e32 v131, v136, v131
	v_add_f32_e32 v136, v172, v141
	;; [unrolled: 1-line block ×5, first 2 shown]
	v_sub_f32_e32 v130, v132, v167
	v_add_f32_e32 v34, v187, v34
	v_fmac_f32_e32 v193, 0xbf6f5d39, v109
	v_add_f32_e32 v35, v38, v35
	v_fma_f32 v38, 0x3f116cb1, v106, -v198
	v_add_f32_e32 v39, v179, v39
	v_fmac_f32_e32 v180, 0x3eedf032, v105
	v_mul_f32_e32 v166, 0xbf3f9e67, v106
	v_mul_f32_e32 v175, 0x3eedf032, v111
	v_add_f32_e32 v177, v182, v177
	v_fmamk_f32 v182, v107, 0x3f7e222b, v184
	v_mul_f32_e32 v183, 0xbf788fa5, v123
	v_add_f32_e32 v131, v136, v131
	v_add_f32_e32 v132, v178, v144
	;; [unrolled: 1-line block ×5, first 2 shown]
	v_sub_f32_e32 v130, v137, v171
	v_mul_f32_e32 v116, 0x3f62ad3f, v116
	v_add_f32_e32 v34, v193, v34
	v_fmac_f32_e32 v197, 0x3f7e222b, v111
	v_add_f32_e32 v38, v38, v35
	v_fma_f32 v40, 0xbeb58ec6, v108, -v201
	v_add_f32_e32 v39, v180, v39
	v_fmac_f32_e32 v184, 0xbf7e222b, v107
	v_mul_f32_e32 v170, 0x3df6dbef, v108
	v_add_f32_e32 v177, v182, v177
	v_fmamk_f32 v182, v109, 0xbe750f2a, v183
	v_add_f32_e32 v124, v132, v131
	v_add_f32_e32 v119, v127, v119
	;; [unrolled: 1-line block ×4, first 2 shown]
	v_sub_f32_e32 v129, v142, v175
	v_fmamk_f32 v130, v102, 0x3eedf032, v116
	v_mul_f32_e32 v131, 0x3f116cb1, v118
	v_add_f32_e32 v35, v197, v34
	v_fma_f32 v34, 0xbeb58ec6, v100, -v176
	v_add_f32_e32 v38, v40, v38
	v_fma_f32 v40, 0x3df6dbef, v110, -v194
	v_add_f32_e32 v39, v184, v39
	v_fmac_f32_e32 v183, 0x3e750f2a, v109
	v_mul_f32_e32 v174, 0x3f62ad3f, v110
	v_add_f32_e32 v118, v127, v119
	v_add_f32_e32 v127, v170, v133
	;; [unrolled: 1-line block ×4, first 2 shown]
	v_fmamk_f32 v129, v103, 0x3f52af12, v131
	v_mul_f32_e32 v122, 0x3df6dbef, v122
	v_add_f32_e32 v41, v44, v34
	v_fma_f32 v46, 0xbf3f9e67, v101, -v199
	v_add_f32_e32 v34, v40, v38
	v_fmac_f32_e32 v116, 0xbeedf032, v102
	v_add_f32_e32 v38, v183, v39
	v_fma_f32 v39, 0x3f62ad3f, v100, -v52
	v_add_f32_e32 v118, v127, v118
	v_add_f32_e32 v127, v174, v138
	;; [unrolled: 1-line block ×3, first 2 shown]
	v_fmamk_f32 v129, v105, 0x3f7e222b, v122
	v_mul_f32_e32 v120, 0xbeb58ec6, v120
	v_add_f32_e32 v40, v46, v41
	v_fma_f32 v41, 0x3f62ad3f, v104, -v200
	v_add_f32_e32 v45, v45, v116
	v_fmac_f32_e32 v131, 0xbf52af12, v103
	v_add_f32_e32 v39, v44, v39
	v_fma_f32 v44, 0x3f116cb1, v101, -v54
	v_add_f32_e32 v118, v127, v118
	v_add_f32_e32 v53, v129, v128
	v_fmamk_f32 v127, v107, 0x3f6f5d39, v120
	v_mul_f32_e32 v123, 0xbf3f9e67, v123
	v_add_f32_e32 v40, v41, v40
	v_fma_f32 v41, 0x3df6dbef, v106, -v190
	v_add_f32_e32 v45, v131, v45
	v_fmac_f32_e32 v122, 0xbf7e222b, v105
	v_add_f32_e32 v39, v44, v39
	v_fma_f32 v44, 0x3df6dbef, v104, -v47
	v_mul_f32_e32 v173, 0xbf52af12, v109
	v_add_f32_e32 v53, v127, v53
	v_fmamk_f32 v55, v109, 0x3f29c268, v123
	v_mul_f32_e32 v42, 0xbf788fa5, v126
	v_add_f32_e32 v40, v41, v40
	v_fma_f32 v41, 0xbf788fa5, v108, -v189
	v_add_f32_e32 v45, v122, v45
	v_fmac_f32_e32 v120, 0xbf6f5d39, v107
	v_add_f32_e32 v39, v44, v39
	v_fma_f32 v44, 0xbeb58ec6, v106, -v48
	v_mul_f32_e32 v181, 0xbf29c268, v111
	v_add_f32_e32 v140, v143, v140
	v_sub_f32_e32 v143, v146, v173
	v_add_f32_e32 v177, v182, v177
	v_mul_f32_e32 v182, 0x3f116cb1, v126
	v_add_f32_e32 v53, v55, v53
	v_fmamk_f32 v49, v111, 0x3e750f2a, v42
	v_add_f32_e32 v40, v41, v40
	v_add_f32_e32 v41, v120, v45
	v_fmac_f32_e32 v123, 0xbf29c268, v109
	v_add_f32_e32 v39, v44, v39
	v_fma_f32 v44, 0xbf3f9e67, v108, -v50
	v_mov_b32_e32 v46, 3
	v_add_f32_e32 v140, v143, v140
	v_sub_f32_e32 v143, v147, v181
	v_fmamk_f32 v202, v111, 0xbf52af12, v182
	v_fmac_f32_e32 v182, 0x3f52af12, v111
	v_fma_f32 v45, 0x3f116cb1, v110, -v165
	v_add_f32_e32 v37, v49, v53
	v_add_f32_e32 v33, v58, v33
	;; [unrolled: 1-line block ×4, first 2 shown]
	v_fmac_f32_e32 v42, 0xbe750f2a, v111
	v_add_f32_e32 v44, v44, v39
	v_fma_f32 v43, 0xbf788fa5, v110, -v43
	v_lshlrev_b32_sdwa v46, v46, v88 dst_sel:DWORD dst_unused:UNUSED_PAD src0_sel:DWORD src1_sel:WORD_0
	v_add_f32_e32 v125, v143, v140
	v_add_f32_e32 v135, v202, v177
	;; [unrolled: 1-line block ×6, first 2 shown]
	ds_write2_b64 v46, v[32:33], v[36:37] offset1:1
	ds_write2_b64 v46, v[118:119], v[124:125] offset0:2 offset1:3
	ds_write2_b64 v46, v[134:135], v[152:153] offset0:4 offset1:5
	;; [unrolled: 1-line block ×5, first 2 shown]
	ds_write_b64 v46, v[40:41] offset:96
.LBB0_17:
	s_or_b32 exec_lo, exec_lo, s1
	v_add_nc_u32_e32 v54, 0x1200, v87
	v_add_nc_u32_e32 v55, 0x1c00, v87
	;; [unrolled: 1-line block ×3, first 2 shown]
	s_waitcnt lgkmcnt(0)
	s_barrier
	buffer_gl0_inv
	ds_read2_b64 v[32:35], v54 offset0:48 offset1:204
	ds_read2_b64 v[36:39], v55 offset0:40 offset1:196
	;; [unrolled: 1-line block ×3, first 2 shown]
	v_add_nc_u32_e32 v58, 0x800, v87
	ds_read2_b64 v[44:47], v87 offset1:156
	ds_read2_b64 v[48:51], v58 offset0:56 offset1:212
	s_waitcnt lgkmcnt(0)
	s_barrier
	buffer_gl0_inv
	v_mul_f32_e32 v88, v64, v39
	v_mul_f32_e32 v52, v66, v35
	;; [unrolled: 1-line block ×8, first 2 shown]
	v_fmac_f32_e32 v66, v67, v36
	v_fma_f32 v37, v67, v37, -v68
	v_mul_f32_e32 v101, v60, v43
	v_mul_f32_e32 v60, v60, v42
	v_fmac_f32_e32 v52, v65, v34
	v_fma_f32 v35, v65, v35, -v53
	v_fmac_f32_e32 v88, v63, v38
	v_fma_f32 v39, v63, v39, -v64
	;; [unrolled: 2-line block ×3, first 2 shown]
	v_sub_f32_e32 v36, v46, v66
	v_sub_f32_e32 v37, v47, v37
	v_fmac_f32_e32 v101, v59, v42
	v_fma_f32 v59, v59, v43, -v60
	v_sub_f32_e32 v34, v44, v52
	v_sub_f32_e32 v35, v45, v35
	;; [unrolled: 1-line block ×4, first 2 shown]
	v_fma_f32 v42, v46, 2.0, -v36
	v_fma_f32 v43, v47, 2.0, -v37
	v_sub_f32_e32 v46, v50, v100
	v_sub_f32_e32 v47, v51, v53
	;; [unrolled: 1-line block ×4, first 2 shown]
	v_fma_f32 v40, v44, 2.0, -v34
	v_fma_f32 v41, v45, 2.0, -v35
	;; [unrolled: 1-line block ×8, first 2 shown]
	ds_write2_b64 v94, v[40:41], v[34:35] offset1:13
	ds_write2_b64 v93, v[42:43], v[36:37] offset1:13
	;; [unrolled: 1-line block ×5, first 2 shown]
	s_waitcnt lgkmcnt(0)
	s_barrier
	buffer_gl0_inv
	ds_read2_b64 v[32:35], v54 offset0:48 offset1:204
	ds_read2_b64 v[36:39], v55 offset0:40 offset1:196
	;; [unrolled: 1-line block ×3, first 2 shown]
	ds_read2_b64 v[44:47], v87 offset1:156
	ds_read2_b64 v[48:51], v58 offset0:56 offset1:212
	s_waitcnt lgkmcnt(0)
	s_barrier
	buffer_gl0_inv
	v_mul_f32_e32 v52, v76, v35
	v_mul_f32_e32 v53, v76, v34
	;; [unrolled: 1-line block ×5, first 2 shown]
	v_fmac_f32_e32 v52, v75, v34
	v_mul_f32_e32 v34, v74, v38
	v_fma_f32 v35, v75, v35, -v53
	v_fmac_f32_e32 v59, v77, v36
	v_fma_f32 v37, v77, v37, -v60
	v_mul_f32_e32 v53, v72, v41
	v_mul_f32_e32 v36, v72, v40
	v_fmac_f32_e32 v61, v73, v38
	v_mul_f32_e32 v60, v70, v43
	v_mul_f32_e32 v38, v70, v42
	v_fma_f32 v62, v73, v39, -v34
	v_fmac_f32_e32 v53, v71, v40
	v_fma_f32 v63, v71, v41, -v36
	v_sub_f32_e32 v36, v46, v59
	v_sub_f32_e32 v37, v47, v37
	v_fmac_f32_e32 v60, v69, v42
	v_fma_f32 v64, v69, v43, -v38
	v_sub_f32_e32 v34, v44, v52
	v_sub_f32_e32 v35, v45, v35
	;; [unrolled: 1-line block ×4, first 2 shown]
	v_fma_f32 v42, v46, 2.0, -v36
	v_fma_f32 v43, v47, 2.0, -v37
	v_sub_f32_e32 v46, v50, v53
	v_sub_f32_e32 v47, v51, v63
	;; [unrolled: 1-line block ×4, first 2 shown]
	v_fma_f32 v38, v44, 2.0, -v34
	v_fma_f32 v39, v45, 2.0, -v35
	;; [unrolled: 1-line block ×8, first 2 shown]
	ds_write2_b64 v99, v[38:39], v[34:35] offset1:26
	ds_write2_b64 v98, v[42:43], v[36:37] offset1:26
	ds_write2_b64 v97, v[44:45], v[40:41] offset1:26
	ds_write2_b64 v96, v[48:49], v[46:47] offset1:26
	ds_write2_b64 v95, v[32:33], v[52:53] offset1:26
	s_waitcnt lgkmcnt(0)
	s_barrier
	buffer_gl0_inv
	ds_read2_b64 v[32:35], v87 offset1:156
	ds_read2_b64 v[36:39], v58 offset0:56 offset1:212
	ds_read2_b64 v[40:43], v54 offset0:48 offset1:204
	;; [unrolled: 1-line block ×4, first 2 shown]
	s_waitcnt lgkmcnt(0)
	s_barrier
	buffer_gl0_inv
	v_mul_f32_e32 v52, v13, v35
	v_mul_f32_e32 v13, v13, v34
	;; [unrolled: 1-line block ×4, first 2 shown]
	v_fmac_f32_e32 v52, v12, v34
	v_fma_f32 v12, v12, v35, -v13
	v_fmac_f32_e32 v53, v14, v36
	v_mul_f32_e32 v13, v9, v39
	v_mul_f32_e32 v9, v9, v38
	v_fma_f32 v14, v14, v37, -v15
	v_mul_f32_e32 v15, v11, v41
	v_mul_f32_e32 v11, v11, v40
	v_fmac_f32_e32 v13, v8, v38
	v_fma_f32 v8, v8, v39, -v9
	v_mul_f32_e32 v9, v5, v43
	v_fmac_f32_e32 v15, v10, v40
	v_fma_f32 v10, v10, v41, -v11
	v_mul_f32_e32 v5, v5, v42
	v_mul_f32_e32 v11, v7, v45
	v_fmac_f32_e32 v9, v4, v42
	v_mul_f32_e32 v7, v7, v44
	v_mul_f32_e32 v34, v1, v47
	v_fma_f32 v4, v4, v43, -v5
	v_fmac_f32_e32 v11, v6, v44
	v_mul_f32_e32 v5, v3, v48
	v_mul_f32_e32 v3, v3, v49
	v_fma_f32 v6, v6, v45, -v7
	v_mul_f32_e32 v1, v1, v46
	v_add_f32_e32 v7, v15, v11
	v_fma_f32 v5, v2, v49, -v5
	v_add_f32_e32 v36, v32, v53
	v_fmac_f32_e32 v3, v2, v48
	v_fmac_f32_e32 v34, v0, v46
	v_fma_f32 v37, -0.5, v7, v32
	v_sub_f32_e32 v7, v14, v5
	v_fma_f32 v0, v0, v47, -v1
	v_add_f32_e32 v1, v36, v15
	v_add_f32_e32 v40, v53, v3
	v_sub_f32_e32 v2, v10, v6
	v_fmamk_f32 v36, v7, 0xbf737871, v37
	v_sub_f32_e32 v38, v53, v15
	v_sub_f32_e32 v39, v3, v11
	v_mul_f32_e32 v41, v80, v50
	v_add_f32_e32 v1, v1, v11
	v_fma_f32 v32, -0.5, v40, v32
	v_fmac_f32_e32 v37, 0x3f737871, v7
	v_add_f32_e32 v43, v33, v14
	v_fmac_f32_e32 v36, 0xbf167918, v2
	v_add_f32_e32 v38, v38, v39
	v_fma_f32 v39, v79, v51, -v41
	v_add_f32_e32 v40, v1, v3
	v_fmamk_f32 v41, v2, 0x3f737871, v32
	v_sub_f32_e32 v1, v15, v53
	v_sub_f32_e32 v42, v11, v3
	v_fmac_f32_e32 v37, 0x3f167918, v2
	v_add_f32_e32 v44, v10, v6
	v_fmac_f32_e32 v32, 0xbf737871, v2
	v_add_f32_e32 v2, v43, v10
	;; [unrolled: 2-line block ×3, first 2 shown]
	v_fma_f32 v42, -0.5, v44, v33
	v_sub_f32_e32 v3, v53, v3
	v_fmac_f32_e32 v32, 0x3f167918, v7
	v_add_f32_e32 v2, v2, v6
	v_add_f32_e32 v7, v14, v5
	v_mul_f32_e32 v35, v80, v51
	v_fmac_f32_e32 v36, 0x3e9e377a, v38
	v_fmac_f32_e32 v37, 0x3e9e377a, v38
	v_fmamk_f32 v38, v3, 0x3f737871, v42
	v_sub_f32_e32 v11, v15, v11
	v_sub_f32_e32 v15, v14, v10
	;; [unrolled: 1-line block ×3, first 2 shown]
	v_fma_f32 v33, -0.5, v7, v33
	v_add_f32_e32 v44, v2, v5
	v_fmac_f32_e32 v42, 0xbf737871, v3
	v_sub_f32_e32 v2, v10, v14
	v_sub_f32_e32 v5, v6, v5
	v_add_f32_e32 v6, v52, v13
	v_fmac_f32_e32 v35, v79, v50
	v_fmac_f32_e32 v41, 0x3e9e377a, v1
	;; [unrolled: 1-line block ×4, first 2 shown]
	v_add_f32_e32 v1, v15, v43
	v_fmamk_f32 v15, v11, 0xbf737871, v33
	v_fmac_f32_e32 v42, 0xbf167918, v11
	v_add_f32_e32 v2, v2, v5
	v_fmac_f32_e32 v33, 0x3f737871, v11
	v_add_f32_e32 v5, v6, v9
	v_add_f32_e32 v6, v9, v34
	v_fmac_f32_e32 v38, 0x3e9e377a, v1
	v_fmac_f32_e32 v15, 0x3f167918, v3
	v_fmac_f32_e32 v42, 0x3e9e377a, v1
	v_fmac_f32_e32 v33, 0xbf167918, v3
	v_add_f32_e32 v1, v5, v34
	v_fma_f32 v3, -0.5, v6, v52
	v_add_f32_e32 v5, v13, v35
	v_sub_f32_e32 v6, v8, v39
	v_fmac_f32_e32 v15, 0x3e9e377a, v2
	v_fmac_f32_e32 v33, 0x3e9e377a, v2
	v_add_f32_e32 v10, v1, v35
	v_sub_f32_e32 v1, v4, v0
	v_fmac_f32_e32 v52, -0.5, v5
	v_fmamk_f32 v5, v6, 0xbf737871, v3
	v_sub_f32_e32 v2, v13, v9
	v_sub_f32_e32 v7, v35, v34
	v_fmac_f32_e32 v3, 0x3f737871, v6
	v_fmamk_f32 v11, v1, 0x3f737871, v52
	v_fmac_f32_e32 v5, 0xbf167918, v1
	v_sub_f32_e32 v14, v9, v13
	v_add_f32_e32 v2, v2, v7
	v_fmac_f32_e32 v3, 0x3f167918, v1
	v_sub_f32_e32 v43, v34, v35
	v_fmac_f32_e32 v52, 0xbf737871, v1
	v_add_f32_e32 v1, v4, v0
	v_fmac_f32_e32 v5, 0x3e9e377a, v2
	v_fmac_f32_e32 v3, 0x3e9e377a, v2
	v_add_f32_e32 v2, v8, v39
	v_fmac_f32_e32 v11, 0xbf167918, v6
	v_add_f32_e32 v7, v14, v43
	v_fmac_f32_e32 v52, 0x3f167918, v6
	v_fma_f32 v1, -0.5, v1, v12
	v_sub_f32_e32 v6, v13, v35
	v_add_f32_e32 v13, v12, v8
	v_sub_f32_e32 v9, v9, v34
	v_fmac_f32_e32 v12, -0.5, v2
	v_fmac_f32_e32 v11, 0x3e9e377a, v7
	v_fmac_f32_e32 v52, 0x3e9e377a, v7
	v_fmamk_f32 v7, v6, 0x3f737871, v1
	v_sub_f32_e32 v2, v8, v4
	v_sub_f32_e32 v14, v39, v0
	v_fmamk_f32 v34, v9, 0xbf737871, v12
	v_sub_f32_e32 v8, v4, v8
	v_sub_f32_e32 v35, v0, v39
	v_fmac_f32_e32 v12, 0x3f737871, v9
	v_fmac_f32_e32 v1, 0xbf737871, v6
	;; [unrolled: 1-line block ×3, first 2 shown]
	v_add_f32_e32 v2, v2, v14
	v_fmac_f32_e32 v34, 0x3f167918, v6
	v_add_f32_e32 v8, v8, v35
	v_fmac_f32_e32 v12, 0xbf167918, v6
	v_fmac_f32_e32 v1, 0xbf167918, v9
	v_add_f32_e32 v4, v13, v4
	v_fmac_f32_e32 v7, 0x3e9e377a, v2
	v_fmac_f32_e32 v34, 0x3e9e377a, v8
	;; [unrolled: 1-line block ×4, first 2 shown]
	v_add_f32_e32 v0, v4, v0
	v_mul_f32_e32 v13, 0xbf167918, v7
	v_mul_f32_e32 v45, 0x3f4f1bbd, v7
	;; [unrolled: 1-line block ×8, first 2 shown]
	v_add_f32_e32 v39, v0, v39
	v_fmac_f32_e32 v13, 0x3f4f1bbd, v5
	v_fmac_f32_e32 v45, 0x3f167918, v5
	;; [unrolled: 1-line block ×8, first 2 shown]
	v_add_f32_e32 v0, v40, v10
	v_add_f32_e32 v2, v36, v13
	;; [unrolled: 1-line block ×10, first 2 shown]
	v_sub_f32_e32 v10, v40, v10
	v_sub_f32_e32 v12, v36, v13
	;; [unrolled: 1-line block ×3, first 2 shown]
	v_add_nc_u32_e32 v36, 0x400, v89
	v_sub_f32_e32 v14, v41, v14
	v_sub_f32_e32 v34, v32, v35
	;; [unrolled: 1-line block ×5, first 2 shown]
	v_add_nc_u32_e32 v37, 0x800, v89
	v_sub_f32_e32 v35, v33, v47
	v_sub_f32_e32 v33, v42, v48
	ds_write2_b64 v89, v[0:1], v[2:3] offset1:52
	ds_write2_b64 v89, v[4:5], v[6:7] offset0:104 offset1:156
	ds_write2_b64 v36, v[8:9], v[10:11] offset0:80 offset1:132
	;; [unrolled: 1-line block ×4, first 2 shown]
	v_add_nc_u32_e32 v36, 0x900, v87
	v_add_nc_u32_e32 v38, 0x2000, v87
	;; [unrolled: 1-line block ×3, first 2 shown]
	s_waitcnt lgkmcnt(0)
	s_barrier
	buffer_gl0_inv
	ds_read2_b64 v[4:7], v87 offset1:156
	ds_read2_b64 v[0:3], v36 offset0:24 offset1:232
	ds_read2_b64 v[12:15], v38 offset0:16 offset1:172
	;; [unrolled: 1-line block ×3, first 2 shown]
	ds_read_b64 v[34:35], v87 offset:10816
	s_and_saveexec_b32 s1, s0
	s_cbranch_execz .LBB0_19
; %bb.18:
	ds_read_b64 v[32:33], v87 offset:3744
	ds_read_b64 v[83:84], v87 offset:7904
	;; [unrolled: 1-line block ×3, first 2 shown]
.LBB0_19:
	s_or_b32 exec_lo, exec_lo, s1
	s_waitcnt lgkmcnt(3)
	v_mul_f32_e32 v39, v25, v3
	v_mul_f32_e32 v25, v25, v2
	s_waitcnt lgkmcnt(2)
	v_mul_f32_e32 v40, v27, v13
	v_mul_f32_e32 v27, v27, v12
	v_fmac_f32_e32 v39, v24, v2
	v_fma_f32 v3, v24, v3, -v25
	s_waitcnt lgkmcnt(1)
	v_mul_f32_e32 v24, v29, v9
	v_mul_f32_e32 v2, v29, v8
	v_fmac_f32_e32 v40, v26, v12
	v_fma_f32 v12, v26, v13, -v27
	v_mul_f32_e32 v13, v31, v15
	v_fmac_f32_e32 v24, v28, v8
	v_mul_f32_e32 v8, v31, v14
	v_fma_f32 v25, v28, v9, -v2
	v_mul_f32_e32 v26, v21, v11
	v_mul_f32_e32 v2, v21, v10
	v_fmac_f32_e32 v13, v30, v14
	v_fma_f32 v14, v30, v15, -v8
	s_waitcnt lgkmcnt(0)
	v_mul_f32_e32 v8, v23, v34
	v_fmac_f32_e32 v26, v20, v10
	v_fma_f32 v20, v20, v11, -v2
	v_add_f32_e32 v2, v39, v40
	v_add_f32_e32 v9, v4, v39
	v_fma_f32 v21, v22, v35, -v8
	v_add_f32_e32 v8, v3, v12
	v_sub_f32_e32 v10, v3, v12
	v_fma_f32 v2, -0.5, v2, v4
	v_mul_f32_e32 v15, v23, v35
	v_add_f32_e32 v4, v9, v40
	v_add_f32_e32 v9, v5, v3
	v_fma_f32 v3, -0.5, v8, v5
	v_sub_f32_e32 v11, v39, v40
	v_fmamk_f32 v8, v10, 0xbf5db3d7, v2
	v_fmac_f32_e32 v2, 0x3f5db3d7, v10
	v_add_f32_e32 v10, v24, v13
	v_fmac_f32_e32 v15, v22, v34
	v_add_f32_e32 v5, v9, v12
	v_fmamk_f32 v9, v11, 0x3f5db3d7, v3
	v_add_f32_e32 v12, v6, v24
	v_fmac_f32_e32 v3, 0xbf5db3d7, v11
	v_add_f32_e32 v11, v25, v14
	v_fma_f32 v6, -0.5, v10, v6
	v_sub_f32_e32 v22, v25, v14
	v_add_f32_e32 v23, v7, v25
	v_add_f32_e32 v10, v12, v13
	v_fmac_f32_e32 v7, -0.5, v11
	v_sub_f32_e32 v24, v24, v13
	v_fmamk_f32 v12, v22, 0xbf5db3d7, v6
	v_fmac_f32_e32 v6, 0x3f5db3d7, v22
	v_add_f32_e32 v11, v23, v14
	v_add_f32_e32 v14, v26, v15
	;; [unrolled: 1-line block ×5, first 2 shown]
	v_fmamk_f32 v13, v24, 0x3f5db3d7, v7
	v_fmac_f32_e32 v7, 0xbf5db3d7, v24
	v_fma_f32 v0, -0.5, v14, v0
	v_sub_f32_e32 v24, v20, v21
	v_fmac_f32_e32 v1, -0.5, v22
	v_sub_f32_e32 v22, v26, v15
	v_add_f32_e32 v14, v23, v15
	v_add_f32_e32 v15, v25, v21
	v_fmamk_f32 v20, v24, 0xbf5db3d7, v0
	v_fmac_f32_e32 v0, 0x3f5db3d7, v24
	v_fmamk_f32 v21, v22, 0x3f5db3d7, v1
	v_fmac_f32_e32 v1, 0xbf5db3d7, v22
	ds_write2_b64 v87, v[4:5], v[10:11] offset1:156
	ds_write2_b64 v38, v[2:3], v[6:7] offset0:16 offset1:172
	ds_write2_b64 v36, v[14:15], v[8:9] offset0:24 offset1:232
	;; [unrolled: 1-line block ×3, first 2 shown]
	ds_write_b64 v87, v[0:1] offset:10816
	s_and_saveexec_b32 s1, s0
	s_cbranch_execz .LBB0_21
; %bb.20:
	v_mul_f32_e32 v0, v17, v83
	v_mul_f32_e32 v1, v19, v81
	;; [unrolled: 1-line block ×4, first 2 shown]
	v_fma_f32 v0, v16, v84, -v0
	v_fma_f32 v3, v18, v82, -v1
	v_fmac_f32_e32 v2, v16, v83
	v_fmac_f32_e32 v4, v18, v81
	v_add_f32_e32 v7, v33, v0
	v_add_f32_e32 v1, v0, v3
	v_sub_f32_e32 v8, v0, v3
	v_add_f32_e32 v5, v2, v4
	v_sub_f32_e32 v6, v2, v4
	v_add_f32_e32 v2, v32, v2
	v_fma_f32 v1, -0.5, v1, v33
	v_add_f32_e32 v3, v7, v3
	v_fma_f32 v0, -0.5, v5, v32
	v_add_f32_e32 v2, v2, v4
	v_fmamk_f32 v5, v6, 0xbf5db3d7, v1
	v_fmac_f32_e32 v1, 0x3f5db3d7, v6
	v_fmamk_f32 v4, v8, 0x3f5db3d7, v0
	v_fmac_f32_e32 v0, 0xbf5db3d7, v8
	ds_write_b64 v87, v[2:3] offset:3744
	ds_write_b64 v87, v[0:1] offset:7904
	;; [unrolled: 1-line block ×3, first 2 shown]
.LBB0_21:
	s_or_b32 exec_lo, exec_lo, s1
	s_waitcnt lgkmcnt(0)
	s_barrier
	buffer_gl0_inv
	s_and_b32 exec_lo, exec_lo, vcc_lo
	s_cbranch_execz .LBB0_23
; %bb.22:
	v_add_co_u32 v6, s0, s14, v85
	v_add_co_ci_u32_e64 v7, null, s15, 0, s0
	global_load_dwordx2 v[24:25], v85, s[14:15]
	v_add_co_u32 v0, vcc_lo, 0x800, v6
	s_clause 0x1
	global_load_dwordx2 v[26:27], v85, s[14:15] offset:960
	global_load_dwordx2 v[28:29], v85, s[14:15] offset:1920
	v_add_co_ci_u32_e32 v1, vcc_lo, 0, v7, vcc_lo
	v_add_co_u32 v2, vcc_lo, 0x1000, v6
	v_add_co_ci_u32_e32 v3, vcc_lo, 0, v7, vcc_lo
	v_add_co_u32 v4, vcc_lo, 0x1800, v6
	v_add_co_ci_u32_e32 v5, vcc_lo, 0, v7, vcc_lo
	s_clause 0x5
	global_load_dwordx2 v[30:31], v[0:1], off offset:832
	global_load_dwordx2 v[32:33], v[0:1], off offset:1792
	;; [unrolled: 1-line block ×6, first 2 shown]
	v_add_co_u32 v0, vcc_lo, 0x2000, v6
	v_add_co_ci_u32_e32 v1, vcc_lo, 0, v7, vcc_lo
	v_add_co_u32 v42, vcc_lo, 0x2800, v6
	v_add_co_ci_u32_e32 v43, vcc_lo, 0, v7, vcc_lo
	s_clause 0x2
	global_load_dwordx2 v[44:45], v[0:1], off offset:448
	global_load_dwordx2 v[46:47], v[0:1], off offset:1408
	;; [unrolled: 1-line block ×3, first 2 shown]
	v_mad_u64_u32 v[4:5], null, s6, v56, 0
	v_mad_u64_u32 v[6:7], null, s4, v86, 0
	ds_read_b64 v[50:51], v87
	v_add_nc_u32_e32 v9, 0x1000, v85
	v_add_nc_u32_e32 v12, 0x1800, v85
	;; [unrolled: 1-line block ×3, first 2 shown]
	v_mov_b32_e32 v0, v5
	v_add_nc_u32_e32 v20, 0x2800, v85
	v_mov_b32_e32 v1, v7
	ds_read2_b64 v[12:15], v12 offset0:72 offset1:192
	ds_read2_b64 v[16:19], v16 offset0:56 offset1:176
	s_mul_i32 s2, s5, 0x3c0
	ds_read2_b64 v[20:23], v20 offset0:40 offset1:160
	v_mad_u64_u32 v[2:3], null, s7, v56, v[0:1]
	s_mul_hi_u32 s3, s4, 0x3c0
	s_mulk_i32 s4, 0x3c0
	s_add_i32 s3, s3, s2
	s_mov_b32 s0, 0x15015015
	s_mov_b32 s1, 0x3f450150
	v_mov_b32_e32 v5, v2
	v_mad_u64_u32 v[7:8], null, s5, v86, v[1:2]
	ds_read2_b64 v[0:3], v85 offset0:120 offset1:240
	v_add_nc_u32_e32 v8, 0x800, v85
	v_lshlrev_b64 v[4:5], 3, v[4:5]
	v_lshlrev_b64 v[6:7], 3, v[6:7]
	v_add_co_u32 v4, vcc_lo, s12, v4
	v_add_co_ci_u32_e32 v5, vcc_lo, s13, v5, vcc_lo
	v_add_co_u32 v52, vcc_lo, v4, v6
	v_add_co_ci_u32_e32 v53, vcc_lo, v5, v7, vcc_lo
	ds_read2_b64 v[4:7], v8 offset0:104 offset1:224
	ds_read2_b64 v[8:11], v9 offset0:88 offset1:208
	v_add_co_u32 v54, vcc_lo, v52, s4
	v_add_co_ci_u32_e32 v55, vcc_lo, s3, v53, vcc_lo
	v_add_co_u32 v56, vcc_lo, v54, s4
	v_add_co_ci_u32_e32 v57, vcc_lo, s3, v55, vcc_lo
	;; [unrolled: 2-line block ×9, first 2 shown]
	s_waitcnt vmcnt(11) lgkmcnt(6)
	v_mul_f32_e32 v72, v51, v25
	v_mul_f32_e32 v25, v50, v25
	s_waitcnt vmcnt(10) lgkmcnt(2)
	v_mul_f32_e32 v73, v1, v27
	s_waitcnt vmcnt(9)
	v_mul_f32_e32 v74, v3, v29
	v_mul_f32_e32 v27, v0, v27
	v_fmac_f32_e32 v72, v50, v24
	v_mul_f32_e32 v29, v2, v29
	v_fma_f32 v24, v24, v51, -v25
	v_fmac_f32_e32 v73, v0, v26
	v_fmac_f32_e32 v74, v2, v28
	v_fma_f32 v26, v26, v1, -v27
	v_cvt_f64_f32_e32 v[0:1], v72
	s_waitcnt vmcnt(8) lgkmcnt(1)
	v_mul_f32_e32 v72, v5, v31
	v_mul_f32_e32 v31, v4, v31
	v_fma_f32 v50, v28, v3, -v29
	v_cvt_f64_f32_e32 v[2:3], v24
	v_cvt_f64_f32_e32 v[24:25], v73
	s_waitcnt vmcnt(7)
	v_mul_f32_e32 v73, v7, v33
	v_mul_f32_e32 v33, v6, v33
	v_cvt_f64_f32_e32 v[28:29], v74
	s_waitcnt vmcnt(6) lgkmcnt(0)
	v_mul_f32_e32 v74, v9, v35
	v_mul_f32_e32 v35, v8, v35
	s_waitcnt vmcnt(5)
	v_mul_f32_e32 v75, v11, v37
	v_mul_f32_e32 v37, v10, v37
	s_waitcnt vmcnt(4)
	;; [unrolled: 3-line block ×3, first 2 shown]
	v_mul_f32_e32 v77, v15, v41
	v_mul_f32_e32 v41, v14, v41
	v_fmac_f32_e32 v72, v4, v30
	v_fma_f32 v30, v30, v5, -v31
	s_waitcnt vmcnt(2)
	v_mul_f32_e32 v78, v17, v45
	v_mul_f32_e32 v45, v16, v45
	v_fmac_f32_e32 v73, v6, v32
	v_fma_f32 v31, v32, v7, -v33
	s_waitcnt vmcnt(1)
	v_mul_f32_e32 v79, v19, v47
	v_mul_f32_e32 v47, v18, v47
	v_fmac_f32_e32 v74, v8, v34
	v_fma_f32 v32, v34, v9, -v35
	v_cvt_f64_f32_e32 v[26:27], v26
	s_waitcnt vmcnt(0)
	v_mul_f32_e32 v80, v21, v49
	v_mul_f32_e32 v49, v20, v49
	v_fmac_f32_e32 v75, v10, v36
	v_fma_f32 v33, v36, v11, -v37
	v_cvt_f64_f32_e32 v[50:51], v50
	v_fmac_f32_e32 v76, v12, v38
	v_fma_f32 v34, v38, v13, -v39
	v_fmac_f32_e32 v77, v14, v40
	v_fma_f32 v35, v40, v15, -v41
	v_cvt_f64_f32_e32 v[4:5], v72
	v_cvt_f64_f32_e32 v[6:7], v30
	v_fmac_f32_e32 v78, v16, v44
	v_fma_f32 v38, v44, v17, -v45
	v_cvt_f64_f32_e32 v[8:9], v73
	v_cvt_f64_f32_e32 v[10:11], v31
	;; [unrolled: 4-line block ×4, first 2 shown]
	v_cvt_f64_f32_e32 v[20:21], v76
	v_cvt_f64_f32_e32 v[30:31], v34
	;; [unrolled: 1-line block ×10, first 2 shown]
	v_mul_f64 v[0:1], v[0:1], s[0:1]
	v_mul_f64 v[2:3], v[2:3], s[0:1]
	;; [unrolled: 1-line block ×24, first 2 shown]
	v_cvt_f32_f64_e32 v0, v[0:1]
	v_cvt_f32_f64_e32 v1, v[2:3]
	;; [unrolled: 1-line block ×24, first 2 shown]
	v_add_co_u32 v26, vcc_lo, v70, s4
	v_add_co_ci_u32_e32 v27, vcc_lo, s3, v71, vcc_lo
	v_add_co_u32 v28, vcc_lo, v26, s4
	v_add_co_ci_u32_e32 v29, vcc_lo, s3, v27, vcc_lo
	global_store_dwordx2 v[52:53], v[0:1], off
	global_store_dwordx2 v[54:55], v[2:3], off
	;; [unrolled: 1-line block ×12, first 2 shown]
	global_load_dwordx2 v[0:1], v[42:43], off offset:1280
	s_waitcnt vmcnt(0)
	v_mul_f32_e32 v2, v23, v1
	v_mul_f32_e32 v1, v22, v1
	v_fmac_f32_e32 v2, v22, v0
	v_fma_f32 v3, v0, v23, -v1
	v_cvt_f64_f32_e32 v[0:1], v2
	v_cvt_f64_f32_e32 v[2:3], v3
	v_mul_f64 v[0:1], v[0:1], s[0:1]
	v_mul_f64 v[2:3], v[2:3], s[0:1]
	v_cvt_f32_f64_e32 v0, v[0:1]
	v_cvt_f32_f64_e32 v1, v[2:3]
	v_add_co_u32 v2, vcc_lo, v28, s4
	v_add_co_ci_u32_e32 v3, vcc_lo, s3, v29, vcc_lo
	global_store_dwordx2 v[2:3], v[0:1], off
.LBB0_23:
	s_endpgm
	.section	.rodata,"a",@progbits
	.p2align	6, 0x0
	.amdhsa_kernel bluestein_single_fwd_len1560_dim1_sp_op_CI_CI
		.amdhsa_group_segment_fixed_size 12480
		.amdhsa_private_segment_fixed_size 0
		.amdhsa_kernarg_size 104
		.amdhsa_user_sgpr_count 6
		.amdhsa_user_sgpr_private_segment_buffer 1
		.amdhsa_user_sgpr_dispatch_ptr 0
		.amdhsa_user_sgpr_queue_ptr 0
		.amdhsa_user_sgpr_kernarg_segment_ptr 1
		.amdhsa_user_sgpr_dispatch_id 0
		.amdhsa_user_sgpr_flat_scratch_init 0
		.amdhsa_user_sgpr_private_segment_size 0
		.amdhsa_wavefront_size32 1
		.amdhsa_uses_dynamic_stack 0
		.amdhsa_system_sgpr_private_segment_wavefront_offset 0
		.amdhsa_system_sgpr_workgroup_id_x 1
		.amdhsa_system_sgpr_workgroup_id_y 0
		.amdhsa_system_sgpr_workgroup_id_z 0
		.amdhsa_system_sgpr_workgroup_info 0
		.amdhsa_system_vgpr_workitem_id 0
		.amdhsa_next_free_vgpr 204
		.amdhsa_next_free_sgpr 16
		.amdhsa_reserve_vcc 1
		.amdhsa_reserve_flat_scratch 0
		.amdhsa_float_round_mode_32 0
		.amdhsa_float_round_mode_16_64 0
		.amdhsa_float_denorm_mode_32 3
		.amdhsa_float_denorm_mode_16_64 3
		.amdhsa_dx10_clamp 1
		.amdhsa_ieee_mode 1
		.amdhsa_fp16_overflow 0
		.amdhsa_workgroup_processor_mode 1
		.amdhsa_memory_ordered 1
		.amdhsa_forward_progress 0
		.amdhsa_shared_vgpr_count 0
		.amdhsa_exception_fp_ieee_invalid_op 0
		.amdhsa_exception_fp_denorm_src 0
		.amdhsa_exception_fp_ieee_div_zero 0
		.amdhsa_exception_fp_ieee_overflow 0
		.amdhsa_exception_fp_ieee_underflow 0
		.amdhsa_exception_fp_ieee_inexact 0
		.amdhsa_exception_int_div_zero 0
	.end_amdhsa_kernel
	.text
.Lfunc_end0:
	.size	bluestein_single_fwd_len1560_dim1_sp_op_CI_CI, .Lfunc_end0-bluestein_single_fwd_len1560_dim1_sp_op_CI_CI
                                        ; -- End function
	.section	.AMDGPU.csdata,"",@progbits
; Kernel info:
; codeLenInByte = 15664
; NumSgprs: 18
; NumVgprs: 204
; ScratchSize: 0
; MemoryBound: 0
; FloatMode: 240
; IeeeMode: 1
; LDSByteSize: 12480 bytes/workgroup (compile time only)
; SGPRBlocks: 2
; VGPRBlocks: 25
; NumSGPRsForWavesPerEU: 18
; NumVGPRsForWavesPerEU: 204
; Occupancy: 4
; WaveLimiterHint : 1
; COMPUTE_PGM_RSRC2:SCRATCH_EN: 0
; COMPUTE_PGM_RSRC2:USER_SGPR: 6
; COMPUTE_PGM_RSRC2:TRAP_HANDLER: 0
; COMPUTE_PGM_RSRC2:TGID_X_EN: 1
; COMPUTE_PGM_RSRC2:TGID_Y_EN: 0
; COMPUTE_PGM_RSRC2:TGID_Z_EN: 0
; COMPUTE_PGM_RSRC2:TIDIG_COMP_CNT: 0
	.text
	.p2alignl 6, 3214868480
	.fill 48, 4, 3214868480
	.type	__hip_cuid_6ce8277a0b9da12e,@object ; @__hip_cuid_6ce8277a0b9da12e
	.section	.bss,"aw",@nobits
	.globl	__hip_cuid_6ce8277a0b9da12e
__hip_cuid_6ce8277a0b9da12e:
	.byte	0                               ; 0x0
	.size	__hip_cuid_6ce8277a0b9da12e, 1

	.ident	"AMD clang version 19.0.0git (https://github.com/RadeonOpenCompute/llvm-project roc-6.4.0 25133 c7fe45cf4b819c5991fe208aaa96edf142730f1d)"
	.section	".note.GNU-stack","",@progbits
	.addrsig
	.addrsig_sym __hip_cuid_6ce8277a0b9da12e
	.amdgpu_metadata
---
amdhsa.kernels:
  - .args:
      - .actual_access:  read_only
        .address_space:  global
        .offset:         0
        .size:           8
        .value_kind:     global_buffer
      - .actual_access:  read_only
        .address_space:  global
        .offset:         8
        .size:           8
        .value_kind:     global_buffer
      - .actual_access:  read_only
        .address_space:  global
        .offset:         16
        .size:           8
        .value_kind:     global_buffer
      - .actual_access:  read_only
        .address_space:  global
        .offset:         24
        .size:           8
        .value_kind:     global_buffer
      - .actual_access:  read_only
        .address_space:  global
        .offset:         32
        .size:           8
        .value_kind:     global_buffer
      - .offset:         40
        .size:           8
        .value_kind:     by_value
      - .address_space:  global
        .offset:         48
        .size:           8
        .value_kind:     global_buffer
      - .address_space:  global
        .offset:         56
        .size:           8
        .value_kind:     global_buffer
      - .address_space:  global
        .offset:         64
        .size:           8
        .value_kind:     global_buffer
      - .address_space:  global
        .offset:         72
        .size:           8
        .value_kind:     global_buffer
      - .offset:         80
        .size:           4
        .value_kind:     by_value
      - .address_space:  global
        .offset:         88
        .size:           8
        .value_kind:     global_buffer
      - .address_space:  global
        .offset:         96
        .size:           8
        .value_kind:     global_buffer
    .group_segment_fixed_size: 12480
    .kernarg_segment_align: 8
    .kernarg_segment_size: 104
    .language:       OpenCL C
    .language_version:
      - 2
      - 0
    .max_flat_workgroup_size: 156
    .name:           bluestein_single_fwd_len1560_dim1_sp_op_CI_CI
    .private_segment_fixed_size: 0
    .sgpr_count:     18
    .sgpr_spill_count: 0
    .symbol:         bluestein_single_fwd_len1560_dim1_sp_op_CI_CI.kd
    .uniform_work_group_size: 1
    .uses_dynamic_stack: false
    .vgpr_count:     204
    .vgpr_spill_count: 0
    .wavefront_size: 32
    .workgroup_processor_mode: 1
amdhsa.target:   amdgcn-amd-amdhsa--gfx1030
amdhsa.version:
  - 1
  - 2
...

	.end_amdgpu_metadata
